;; amdgpu-corpus repo=ROCm/rocFFT kind=compiled arch=gfx906 opt=O3
	.text
	.amdgcn_target "amdgcn-amd-amdhsa--gfx906"
	.amdhsa_code_object_version 6
	.protected	bluestein_single_back_len1680_dim1_dp_op_CI_CI ; -- Begin function bluestein_single_back_len1680_dim1_dp_op_CI_CI
	.globl	bluestein_single_back_len1680_dim1_dp_op_CI_CI
	.p2align	8
	.type	bluestein_single_back_len1680_dim1_dp_op_CI_CI,@function
bluestein_single_back_len1680_dim1_dp_op_CI_CI: ; @bluestein_single_back_len1680_dim1_dp_op_CI_CI
; %bb.0:
	s_load_dwordx4 s[12:15], s[4:5], 0x28
	s_mov_b64 s[42:43], s[2:3]
	v_mul_u32_u24_e32 v1, 0x24a, v0
	s_mov_b64 s[40:41], s[0:1]
	v_add_u32_sdwa v4, s6, v1 dst_sel:DWORD dst_unused:UNUSED_PAD src0_sel:DWORD src1_sel:WORD_1
	v_mov_b32_e32 v5, 0
	s_add_u32 s40, s40, s7
	s_waitcnt lgkmcnt(0)
	v_cmp_gt_u64_e32 vcc, s[12:13], v[4:5]
	s_addc_u32 s41, s41, 0
	s_and_saveexec_b64 s[0:1], vcc
	s_cbranch_execz .LBB0_47
; %bb.1:
	s_load_dwordx4 s[0:3], s[4:5], 0x18
	s_load_dwordx2 s[16:17], s[4:5], 0x0
	v_mov_b32_e32 v5, v4
	s_waitcnt lgkmcnt(0)
	s_load_dwordx4 s[8:11], s[0:1], 0x0
	s_movk_i32 s0, 0x70
	v_mul_lo_u16_sdwa v1, v1, s0 dst_sel:DWORD dst_unused:UNUSED_PAD src0_sel:WORD_1 src1_sel:DWORD
	v_sub_u16_e32 v43, v0, v1
	buffer_store_dword v5, off, s[40:43], 0 offset:88 ; 4-byte Folded Spill
	s_nop 0
	buffer_store_dword v6, off, s[40:43], 0 offset:92 ; 4-byte Folded Spill
	s_waitcnt lgkmcnt(0)
	v_mad_u64_u32 v[0:1], s[0:1], s10, v4, 0
	v_mad_u64_u32 v[2:3], s[0:1], s8, v43, 0
	v_lshlrev_b32_e32 v42, 4, v43
	v_add_co_u32_e64 v40, s[6:7], s16, v42
	v_mad_u64_u32 v[4:5], s[0:1], s11, v4, v[1:2]
	v_mad_u64_u32 v[5:6], s[0:1], s9, v43, v[3:4]
	v_mov_b32_e32 v1, v4
	v_lshlrev_b64 v[0:1], 4, v[0:1]
	v_mov_b32_e32 v6, s15
	v_mov_b32_e32 v3, v5
	v_add_co_u32_e32 v4, vcc, s14, v0
	v_addc_co_u32_e32 v5, vcc, v6, v1, vcc
	v_lshlrev_b64 v[0:1], 4, v[2:3]
	s_mul_i32 s0, s9, 0x348
	s_mul_hi_u32 s1, s8, 0x348
	v_add_co_u32_e32 v0, vcc, v4, v0
	v_mov_b32_e32 v2, s17
	s_add_i32 s1, s1, s0
	s_mul_i32 s0, s8, 0x348
	v_addc_co_u32_e32 v1, vcc, v5, v1, vcc
	v_addc_co_u32_e64 v49, vcc, 0, v2, s[6:7]
	s_lshl_b64 s[14:15], s[0:1], 4
	v_mov_b32_e32 v41, s15
	v_add_co_u32_e32 v10, vcc, s14, v0
	v_addc_co_u32_e32 v11, vcc, v1, v41, vcc
	s_movk_i32 s0, 0x3000
	s_mul_hi_u32 s1, s8, 0xfffffd28
	global_load_dwordx4 v[2:5], v[0:1], off
	global_load_dwordx4 v[6:9], v[10:11], off
	v_add_co_u32_e32 v0, vcc, s0, v40
	s_mul_i32 s0, s9, 0xfffffd28
	s_sub_i32 s1, s1, s8
	s_add_i32 s1, s1, s0
	s_mul_i32 s0, s8, 0xfffffd28
	v_addc_co_u32_e32 v1, vcc, 0, v49, vcc
	s_lshl_b64 s[18:19], s[0:1], 4
	v_mov_b32_e32 v48, s19
	v_add_co_u32_e32 v18, vcc, s18, v10
	v_addc_co_u32_e32 v19, vcc, v11, v48, vcc
	v_add_co_u32_e32 v20, vcc, s14, v18
	global_load_dwordx4 v[52:55], v42, s[16:17]
	global_load_dwordx4 v[86:89], v42, s[16:17] offset:1792
	v_addc_co_u32_e32 v21, vcc, v19, v41, vcc
	global_load_dwordx4 v[10:13], v[18:19], off
	global_load_dwordx4 v[14:17], v[20:21], off
	global_load_dwordx4 v[78:81], v[0:1], off offset:1152
	global_load_dwordx4 v[90:93], v[0:1], off offset:2944
	v_add_co_u32_e32 v0, vcc, s18, v20
	v_addc_co_u32_e32 v1, vcc, v21, v48, vcc
	global_load_dwordx4 v[18:21], v[0:1], off
	global_load_dwordx4 v[94:97], v42, s[16:17] offset:3584
	v_add_co_u32_e32 v0, vcc, s14, v0
	v_addc_co_u32_e32 v1, vcc, v1, v41, vcc
	s_movk_i32 s0, 0x4000
	v_add_co_u32_e32 v34, vcc, s0, v40
	v_addc_co_u32_e32 v35, vcc, 0, v49, vcc
	global_load_dwordx4 v[22:25], v[0:1], off
	v_add_co_u32_e32 v0, vcc, s18, v0
	v_addc_co_u32_e32 v1, vcc, v1, v48, vcc
	s_movk_i32 s0, 0x1000
	v_add_co_u32_e32 v38, vcc, s0, v40
	v_addc_co_u32_e32 v39, vcc, 0, v49, vcc
	global_load_dwordx4 v[26:29], v[0:1], off
	v_add_co_u32_e32 v0, vcc, s14, v0
	v_addc_co_u32_e32 v1, vcc, v1, v41, vcc
	global_load_dwordx4 v[30:33], v[0:1], off
	global_load_dwordx4 v[106:109], v[34:35], off offset:640
	global_load_dwordx4 v[98:101], v[34:35], off offset:2432
	v_add_co_u32_e32 v0, vcc, s18, v0
	v_addc_co_u32_e32 v1, vcc, v1, v48, vcc
	global_load_dwordx4 v[34:37], v[0:1], off
	global_load_dwordx4 v[110:113], v[38:39], off offset:1280
	global_load_dwordx4 v[102:105], v[38:39], off offset:3072
	v_add_co_u32_e32 v0, vcc, s14, v0
	v_addc_co_u32_e32 v1, vcc, v1, v41, vcc
	s_movk_i32 s0, 0x5000
	v_add_co_u32_e32 v38, vcc, s0, v40
	v_addc_co_u32_e32 v39, vcc, 0, v49, vcc
	global_load_dwordx4 v[44:47], v[0:1], off
	v_add_co_u32_e32 v0, vcc, s18, v0
	v_addc_co_u32_e32 v1, vcc, v1, v48, vcc
	s_movk_i32 s0, 0x2000
	v_add_co_u32_e32 v68, vcc, s0, v40
	v_addc_co_u32_e32 v69, vcc, 0, v49, vcc
	global_load_dwordx4 v[56:59], v[0:1], off
	v_add_co_u32_e32 v0, vcc, s14, v0
	buffer_store_dword v49, off, s[40:43], 0 offset:4 ; 4-byte Folded Spill
	v_addc_co_u32_e32 v1, vcc, v1, v41, vcc
	global_load_dwordx4 v[114:117], v[38:39], off offset:128
	global_load_dwordx4 v[60:63], v[0:1], off
	global_load_dwordx4 v[118:121], v[38:39], off offset:1920
	v_add_co_u32_e32 v0, vcc, s18, v0
	v_addc_co_u32_e32 v1, vcc, v1, v48, vcc
	global_load_dwordx4 v[64:67], v[0:1], off
	global_load_dwordx4 v[48:51], v[68:69], off offset:768
	global_load_dwordx4 v[122:125], v[68:69], off offset:2560
	v_add_co_u32_e32 v0, vcc, s14, v0
	v_addc_co_u32_e32 v1, vcc, v1, v41, vcc
	global_load_dwordx4 v[68:71], v[0:1], off
	global_load_dwordx4 v[126:129], v[38:39], off offset:3712
	v_cmp_gt_u16_e64 s[0:1], 56, v43
	s_waitcnt vmcnt(26)
	v_mul_f64 v[38:39], v[4:5], v[54:55]
	v_mul_f64 v[72:73], v[2:3], v[54:55]
	s_waitcnt vmcnt(22)
	v_mul_f64 v[74:75], v[8:9], v[80:81]
	v_mul_f64 v[76:77], v[6:7], v[80:81]
	v_fma_f64 v[2:3], v[2:3], v[52:53], v[38:39]
	v_mul_f64 v[38:39], v[12:13], v[88:89]
	v_fma_f64 v[4:5], v[4:5], v[52:53], -v[72:73]
	v_fma_f64 v[6:7], v[6:7], v[78:79], v[74:75]
	buffer_store_dword v78, off, s[40:43], 0 offset:56 ; 4-byte Folded Spill
	s_nop 0
	buffer_store_dword v79, off, s[40:43], 0 offset:60 ; 4-byte Folded Spill
	buffer_store_dword v80, off, s[40:43], 0 offset:64 ; 4-byte Folded Spill
	;; [unrolled: 1-line block ×3, first 2 shown]
	s_waitcnt vmcnt(25)
	v_mul_f64 v[74:75], v[16:17], v[92:93]
	v_mul_f64 v[72:73], v[10:11], v[88:89]
	s_waitcnt vmcnt(23)
	v_mul_f64 v[80:81], v[18:19], v[96:97]
	v_fma_f64 v[10:11], v[10:11], v[86:87], v[38:39]
	buffer_store_dword v86, off, s[40:43], 0 offset:8 ; 4-byte Folded Spill
	s_nop 0
	buffer_store_dword v87, off, s[40:43], 0 offset:12 ; 4-byte Folded Spill
	buffer_store_dword v88, off, s[40:43], 0 offset:16 ; 4-byte Folded Spill
	;; [unrolled: 1-line block ×3, first 2 shown]
	s_waitcnt vmcnt(23)
	v_mul_f64 v[82:83], v[24:25], v[108:109]
	v_mul_f64 v[84:85], v[22:23], v[108:109]
	v_fma_f64 v[22:23], v[22:23], v[106:107], v[82:83]
	v_fma_f64 v[8:9], v[8:9], v[78:79], -v[76:77]
	v_mul_f64 v[78:79], v[20:21], v[96:97]
	v_mul_f64 v[76:77], v[14:15], v[92:93]
	v_fma_f64 v[14:15], v[14:15], v[90:91], v[74:75]
	buffer_store_dword v90, off, s[40:43], 0 offset:24 ; 4-byte Folded Spill
	s_nop 0
	buffer_store_dword v91, off, s[40:43], 0 offset:28 ; 4-byte Folded Spill
	buffer_store_dword v92, off, s[40:43], 0 offset:32 ; 4-byte Folded Spill
	;; [unrolled: 1-line block ×3, first 2 shown]
	v_fma_f64 v[12:13], v[12:13], v[86:87], -v[72:73]
	v_fma_f64 v[18:19], v[18:19], v[94:95], v[78:79]
	buffer_store_dword v94, off, s[40:43], 0 offset:40 ; 4-byte Folded Spill
	s_nop 0
	buffer_store_dword v95, off, s[40:43], 0 offset:44 ; 4-byte Folded Spill
	buffer_store_dword v96, off, s[40:43], 0 offset:48 ; 4-byte Folded Spill
	;; [unrolled: 1-line block ×4, first 2 shown]
	s_nop 0
	buffer_store_dword v107, off, s[40:43], 0 offset:116 ; 4-byte Folded Spill
	buffer_store_dword v108, off, s[40:43], 0 offset:120 ; 4-byte Folded Spill
	;; [unrolled: 1-line block ×3, first 2 shown]
	s_load_dwordx2 s[12:13], s[4:5], 0x38
	s_load_dwordx4 s[8:11], s[2:3], 0x0
	v_fma_f64 v[16:17], v[16:17], v[90:91], -v[76:77]
	v_fma_f64 v[20:21], v[20:21], v[94:95], -v[80:81]
	;; [unrolled: 1-line block ×3, first 2 shown]
	ds_write_b128 v42, v[2:5]
	ds_write_b128 v42, v[6:9] offset:13440
	ds_write_b128 v42, v[10:13] offset:1792
	;; [unrolled: 1-line block ×5, first 2 shown]
	s_waitcnt vmcnt(32)
	v_mul_f64 v[2:3], v[28:29], v[112:113]
	v_mul_f64 v[6:7], v[32:33], v[100:101]
	;; [unrolled: 1-line block ×4, first 2 shown]
	s_waitcnt vmcnt(31)
	v_mul_f64 v[10:11], v[36:37], v[104:105]
	s_waitcnt vmcnt(27)
	v_mul_f64 v[14:15], v[46:47], v[116:117]
	;; [unrolled: 2-line block ×3, first 2 shown]
	v_mul_f64 v[12:13], v[34:35], v[104:105]
	v_fma_f64 v[2:3], v[26:27], v[110:111], v[2:3]
	buffer_store_dword v110, off, s[40:43], 0 offset:128 ; 4-byte Folded Spill
	s_nop 0
	buffer_store_dword v111, off, s[40:43], 0 offset:132 ; 4-byte Folded Spill
	buffer_store_dword v112, off, s[40:43], 0 offset:136 ; 4-byte Folded Spill
	;; [unrolled: 1-line block ×3, first 2 shown]
	v_fma_f64 v[6:7], v[30:31], v[98:99], v[6:7]
	buffer_store_dword v98, off, s[40:43], 0 offset:72 ; 4-byte Folded Spill
	s_nop 0
	buffer_store_dword v99, off, s[40:43], 0 offset:76 ; 4-byte Folded Spill
	buffer_store_dword v100, off, s[40:43], 0 offset:80 ; 4-byte Folded Spill
	;; [unrolled: 1-line block ×3, first 2 shown]
	s_waitcnt vmcnt(30)
	v_mul_f64 v[26:27], v[66:67], v[124:125]
	s_waitcnt vmcnt(28)
	v_mul_f64 v[30:31], v[70:71], v[128:129]
	v_fma_f64 v[10:11], v[34:35], v[102:103], v[10:11]
	buffer_store_dword v102, off, s[40:43], 0 offset:96 ; 4-byte Folded Spill
	s_nop 0
	buffer_store_dword v103, off, s[40:43], 0 offset:100 ; 4-byte Folded Spill
	buffer_store_dword v104, off, s[40:43], 0 offset:104 ; 4-byte Folded Spill
	buffer_store_dword v105, off, s[40:43], 0 offset:108 ; 4-byte Folded Spill
	v_mul_f64 v[16:17], v[44:45], v[116:117]
	v_fma_f64 v[14:15], v[44:45], v[114:115], v[14:15]
	buffer_store_dword v114, off, s[40:43], 0 offset:144 ; 4-byte Folded Spill
	s_nop 0
	buffer_store_dword v115, off, s[40:43], 0 offset:148 ; 4-byte Folded Spill
	buffer_store_dword v116, off, s[40:43], 0 offset:152 ; 4-byte Folded Spill
	buffer_store_dword v117, off, s[40:43], 0 offset:156 ; 4-byte Folded Spill
	;; [unrolled: 7-line block ×3, first 2 shown]
	v_fma_f64 v[26:27], v[64:65], v[122:123], v[26:27]
	v_fma_f64 v[30:31], v[68:69], v[126:127], v[30:31]
	v_mul_f64 v[18:19], v[58:59], v[50:51]
	v_mul_f64 v[20:21], v[56:57], v[50:51]
	v_fma_f64 v[18:19], v[56:57], v[48:49], v[18:19]
	v_fma_f64 v[20:21], v[58:59], v[48:49], -v[20:21]
	v_fma_f64 v[4:5], v[28:29], v[110:111], -v[4:5]
	v_mul_f64 v[28:29], v[64:65], v[124:125]
	buffer_store_dword v122, off, s[40:43], 0 offset:176 ; 4-byte Folded Spill
	s_nop 0
	buffer_store_dword v123, off, s[40:43], 0 offset:180 ; 4-byte Folded Spill
	buffer_store_dword v124, off, s[40:43], 0 offset:184 ; 4-byte Folded Spill
	;; [unrolled: 1-line block ×3, first 2 shown]
	v_fma_f64 v[8:9], v[32:33], v[98:99], -v[8:9]
	v_mul_f64 v[32:33], v[68:69], v[128:129]
	buffer_store_dword v126, off, s[40:43], 0 offset:192 ; 4-byte Folded Spill
	s_nop 0
	buffer_store_dword v127, off, s[40:43], 0 offset:196 ; 4-byte Folded Spill
	buffer_store_dword v128, off, s[40:43], 0 offset:200 ; 4-byte Folded Spill
	;; [unrolled: 1-line block ×3, first 2 shown]
	v_fma_f64 v[12:13], v[36:37], v[102:103], -v[12:13]
	v_fma_f64 v[16:17], v[46:47], v[114:115], -v[16:17]
	v_fma_f64 v[24:25], v[62:63], v[118:119], -v[24:25]
	v_fma_f64 v[28:29], v[66:67], v[122:123], -v[28:29]
	v_fma_f64 v[32:33], v[70:71], v[126:127], -v[32:33]
	ds_write_b128 v42, v[2:5] offset:5376
	ds_write_b128 v42, v[6:9] offset:18816
	;; [unrolled: 1-line block ×8, first 2 shown]
	s_and_saveexec_b64 s[2:3], s[0:1]
	s_cbranch_execz .LBB0_3
; %bb.2:
	buffer_load_dword v11, off, s[40:43], 0 offset:4 ; 4-byte Folded Reload
	v_mov_b32_e32 v2, s19
	v_add_co_u32_e32 v8, vcc, s18, v0
	v_addc_co_u32_e32 v9, vcc, v1, v2, vcc
	v_add_co_u32_e32 v4, vcc, 0x3000, v40
	v_mov_b32_e32 v10, s15
	global_load_dwordx4 v[0:3], v[8:9], off
	s_waitcnt vmcnt(1)
	v_addc_co_u32_e32 v5, vcc, 0, v11, vcc
	v_add_co_u32_e32 v16, vcc, s14, v8
	v_addc_co_u32_e32 v17, vcc, v9, v10, vcc
	s_movk_i32 s14, 0x6000
	v_add_co_u32_e32 v18, vcc, s14, v40
	global_load_dwordx4 v[4:7], v[4:5], off offset:256
	v_addc_co_u32_e32 v19, vcc, 0, v11, vcc
	global_load_dwordx4 v[8:11], v[18:19], off offset:1408
	global_load_dwordx4 v[12:15], v[16:17], off
	s_waitcnt vmcnt(2)
	v_mul_f64 v[16:17], v[2:3], v[6:7]
	v_mul_f64 v[6:7], v[0:1], v[6:7]
	s_waitcnt vmcnt(0)
	v_mul_f64 v[18:19], v[14:15], v[10:11]
	v_mul_f64 v[10:11], v[12:13], v[10:11]
	v_fma_f64 v[0:1], v[0:1], v[4:5], v[16:17]
	v_fma_f64 v[2:3], v[2:3], v[4:5], -v[6:7]
	v_fma_f64 v[4:5], v[12:13], v[8:9], v[18:19]
	v_fma_f64 v[6:7], v[14:15], v[8:9], -v[10:11]
	ds_write_b128 v42, v[0:3] offset:12544
	ds_write_b128 v42, v[4:7] offset:25984
.LBB0_3:
	s_or_b64 exec, exec, s[2:3]
	s_waitcnt vmcnt(0) lgkmcnt(0)
	s_barrier
	ds_read_b128 v[84:87], v42
	ds_read_b128 v[88:91], v42 offset:1792
	ds_read_b128 v[8:11], v42 offset:15232
	;; [unrolled: 1-line block ×13, first 2 shown]
                                        ; implicit-def: $vgpr64_vgpr65
                                        ; implicit-def: $vgpr68_vgpr69
	s_and_saveexec_b64 s[2:3], s[0:1]
	s_cbranch_execz .LBB0_5
; %bb.4:
	ds_read_b128 v[64:67], v42 offset:12544
	ds_read_b128 v[68:71], v42 offset:25984
.LBB0_5:
	s_or_b64 exec, exec, s[2:3]
	s_waitcnt lgkmcnt(3)
	v_add_f64 v[12:13], v[84:85], -v[12:13]
	v_add_f64 v[14:15], v[86:87], -v[14:15]
	;; [unrolled: 1-line block ×10, first 2 shown]
	s_waitcnt lgkmcnt(1)
	v_add_f64 v[72:73], v[0:1], -v[72:73]
	v_add_f64 v[74:75], v[2:3], -v[74:75]
	v_fma_f64 v[8:9], v[84:85], 2.0, -v[12:13]
	v_fma_f64 v[10:11], v[86:87], 2.0, -v[14:15]
	s_waitcnt lgkmcnt(0)
	v_add_f64 v[84:85], v[56:57], -v[60:61]
	v_add_f64 v[86:87], v[58:59], -v[62:63]
	v_add_f64 v[60:61], v[64:65], -v[68:69]
	v_add_f64 v[62:63], v[66:67], -v[70:71]
	v_fma_f64 v[32:33], v[88:89], 2.0, -v[20:21]
	v_fma_f64 v[34:35], v[90:91], 2.0, -v[22:23]
	;; [unrolled: 1-line block ×10, first 2 shown]
	s_movk_i32 s2, 0x70
	v_add_co_u32_e32 v46, vcc, s2, v43
	s_movk_i32 s2, 0xe0
	v_fma_f64 v[68:69], v[56:57], 2.0, -v[84:85]
	v_fma_f64 v[70:71], v[58:59], 2.0, -v[86:87]
	;; [unrolled: 1-line block ×4, first 2 shown]
	v_add_co_u32_e32 v45, vcc, s2, v43
	s_movk_i32 s2, 0x150
	v_add_co_u32_e32 v17, vcc, s2, v43
	s_movk_i32 s2, 0x1c0
	s_load_dwordx2 s[4:5], s[4:5], 0x8
	v_add_co_u32_e32 v16, vcc, s2, v43
	v_lshlrev_b32_e32 v41, 5, v43
	v_lshlrev_b32_e32 v18, 1, v43
	s_waitcnt lgkmcnt(0)
	s_barrier
	ds_write_b128 v41, v[8:11]
	ds_write_b128 v41, v[12:15] offset:16
	v_lshlrev_b32_e32 v9, 5, v46
	v_lshlrev_b32_e32 v10, 5, v45
	;; [unrolled: 1-line block ×4, first 2 shown]
	s_movk_i32 s2, 0x310
	ds_write_b128 v9, v[32:35]
	ds_write_b128 v9, v[20:23] offset:16
	ds_write_b128 v10, v[36:39]
	ds_write_b128 v10, v[24:27] offset:16
	;; [unrolled: 2-line block ×3, first 2 shown]
	ds_write_b128 v12, v[4:7]
	buffer_store_dword v12, off, s[40:43], 0 offset:288 ; 4-byte Folded Spill
	ds_write_b128 v12, v[76:79] offset:16
	v_add_u32_e32 v12, 0x460, v18
	v_lshlrev_b32_e32 v4, 4, v18
	v_add_u32_e32 v13, 0x540, v18
	v_add_co_u32_e32 v19, vcc, s2, v43
	v_lshlrev_b32_e32 v5, 4, v12
	ds_write_b128 v4, v[0:3] offset:17920
	v_lshlrev_b32_e32 v0, 4, v13
	v_lshlrev_b32_e32 v8, 1, v46
	buffer_store_dword v9, off, s[40:43], 0 offset:272 ; 4-byte Folded Spill
	v_lshlrev_b32_e32 v9, 1, v45
	buffer_store_dword v10, off, s[40:43], 0 offset:276 ; 4-byte Folded Spill
	;; [unrolled: 2-line block ×3, first 2 shown]
	v_lshlrev_b32_e32 v11, 1, v16
	ds_write_b128 v5, v[72:75] offset:16
	buffer_store_dword v0, off, s[40:43], 0 offset:304 ; 4-byte Folded Spill
	ds_write_b128 v0, v[84:87] offset:16
	v_lshlrev_b32_e32 v0, 5, v19
	buffer_store_dword v5, off, s[40:43], 0 offset:300 ; 4-byte Folded Spill
	ds_write_b128 v4, v[68:71] offset:21504
	buffer_store_dword v0, off, s[40:43], 0 offset:340 ; 4-byte Folded Spill
	s_and_saveexec_b64 s[2:3], s[0:1]
	s_cbranch_execz .LBB0_7
; %bb.6:
	v_lshlrev_b32_e32 v0, 5, v19
	ds_write_b128 v0, v[56:59]
	ds_write_b128 v0, v[60:63] offset:16
.LBB0_7:
	s_or_b64 exec, exec, s[2:3]
	s_waitcnt vmcnt(0) lgkmcnt(0)
	s_barrier
	ds_read_b128 v[0:3], v42
	ds_read_b128 v[64:67], v42 offset:1792
	ds_read_b128 v[4:7], v42 offset:15232
	;; [unrolled: 1-line block ×13, first 2 shown]
	s_and_saveexec_b64 s[2:3], s[0:1]
	s_cbranch_execz .LBB0_9
; %bb.8:
	ds_read_b128 v[56:59], v42 offset:12544
	ds_read_b128 v[60:63], v42 offset:25984
.LBB0_9:
	s_or_b64 exec, exec, s[2:3]
	v_and_b32_e32 v24, 1, v43
	v_lshlrev_b32_e32 v14, 4, v24
	global_load_dwordx4 v[128:131], v14, s[4:5]
	s_movk_i32 s2, 0xfc
	s_movk_i32 s3, 0x1fc
	;; [unrolled: 1-line block ×5, first 2 shown]
	v_and_or_b32 v14, v18, s2, v24
	v_and_or_b32 v15, v8, s3, v24
	;; [unrolled: 1-line block ×7, first 2 shown]
	v_lshlrev_b32_e32 v125, 4, v14
	v_lshlrev_b32_e32 v124, 4, v15
	;; [unrolled: 1-line block ×7, first 2 shown]
	s_waitcnt vmcnt(0) lgkmcnt(0)
	s_barrier
	buffer_store_dword v125, off, s[40:43], 0 offset:296 ; 4-byte Folded Spill
	v_mul_f64 v[14:15], v[110:111], v[130:131]
	v_mul_f64 v[20:21], v[108:109], v[130:131]
	;; [unrolled: 1-line block ×16, first 2 shown]
	v_fma_f64 v[14:15], v[108:109], v[128:129], -v[14:15]
	v_fma_f64 v[108:109], v[110:111], v[128:129], v[20:21]
	v_fma_f64 v[4:5], v[4:5], v[128:129], -v[22:23]
	v_fma_f64 v[6:7], v[6:7], v[128:129], v[24:25]
	v_fma_f64 v[106:107], v[106:107], v[128:129], v[112:113]
	v_fma_f64 v[110:111], v[60:61], v[128:129], -v[118:119]
	v_fma_f64 v[112:113], v[62:63], v[128:129], v[120:121]
	v_fma_f64 v[88:89], v[88:89], v[128:129], -v[26:27]
	;; [unrolled: 2-line block ×5, first 2 shown]
	v_fma_f64 v[100:101], v[100:101], v[128:129], -v[114:115]
	v_fma_f64 v[102:103], v[102:103], v[128:129], v[116:117]
	v_add_f64 v[20:21], v[0:1], -v[14:15]
	v_add_f64 v[22:23], v[2:3], -v[108:109]
	;; [unrolled: 1-line block ×16, first 2 shown]
	v_fma_f64 v[92:93], v[0:1], 2.0, -v[20:21]
	v_fma_f64 v[94:95], v[2:3], 2.0, -v[22:23]
	;; [unrolled: 1-line block ×16, first 2 shown]
	v_lshlrev_b32_e32 v14, 1, v19
	ds_write_b128 v125, v[20:23] offset:32
	ds_write_b128 v125, v[92:95]
	ds_write_b128 v124, v[64:67]
	buffer_store_dword v124, off, s[40:43], 0 offset:268 ; 4-byte Folded Spill
	ds_write_b128 v124, v[24:27] offset:32
	ds_write_b128 v123, v[72:75]
	buffer_store_dword v123, off, s[40:43], 0 offset:256 ; 4-byte Folded Spill
	ds_write_b128 v123, v[28:31] offset:32
	;; [unrolled: 3-line block ×6, first 2 shown]
	buffer_store_dword v14, off, s[40:43], 0 ; 4-byte Folded Spill
	s_and_saveexec_b64 s[2:3], s[0:1]
	s_cbranch_execz .LBB0_11
; %bb.10:
	buffer_load_dword v14, off, s[40:43], 0 ; 4-byte Folded Reload
	s_movk_i32 s14, 0x6fc
	v_and_b32_e32 v15, 1, v43
	s_waitcnt vmcnt(0)
	v_and_or_b32 v14, v14, s14, v15
	v_lshlrev_b32_e32 v14, 4, v14
	ds_write_b128 v14, v[0:3]
	ds_write_b128 v14, v[4:7] offset:32
.LBB0_11:
	s_or_b64 exec, exec, s[2:3]
	s_waitcnt vmcnt(0) lgkmcnt(0)
	s_barrier
	ds_read_b128 v[56:59], v42
	ds_read_b128 v[60:63], v42 offset:1792
	ds_read_b128 v[84:87], v42 offset:15232
	;; [unrolled: 1-line block ×13, first 2 shown]
	s_and_saveexec_b64 s[2:3], s[0:1]
	s_cbranch_execz .LBB0_13
; %bb.12:
	ds_read_b128 v[0:3], v42 offset:12544
	ds_read_b128 v[4:7], v42 offset:25984
.LBB0_13:
	s_or_b64 exec, exec, s[2:3]
	v_and_b32_e32 v23, 3, v43
	v_lshlrev_b32_e32 v14, 4, v23
	global_load_dwordx4 v[132:135], v14, s[4:5] offset:32
	s_movk_i32 s2, 0xf8
	s_movk_i32 s3, 0x1f8
	;; [unrolled: 1-line block ×5, first 2 shown]
	v_and_or_b32 v14, v18, s2, v23
	v_and_or_b32 v15, v8, s3, v23
	;; [unrolled: 1-line block ×7, first 2 shown]
	v_lshlrev_b32_e32 v124, 4, v14
	v_lshlrev_b32_e32 v123, 4, v15
	;; [unrolled: 1-line block ×7, first 2 shown]
	s_waitcnt vmcnt(0) lgkmcnt(0)
	s_barrier
	buffer_store_dword v124, off, s[40:43], 0 offset:320 ; 4-byte Folded Spill
	v_mul_f64 v[14:15], v[110:111], v[134:135]
	v_mul_f64 v[19:20], v[108:109], v[134:135]
	;; [unrolled: 1-line block ×16, first 2 shown]
	v_fma_f64 v[14:15], v[108:109], v[132:133], -v[14:15]
	v_fma_f64 v[108:109], v[110:111], v[132:133], v[19:20]
	v_fma_f64 v[4:5], v[4:5], v[132:133], -v[118:119]
	v_fma_f64 v[6:7], v[6:7], v[132:133], v[120:121]
	;; [unrolled: 2-line block ×8, first 2 shown]
	v_add_f64 v[19:20], v[56:57], -v[14:15]
	v_add_f64 v[21:22], v[58:59], -v[108:109]
	;; [unrolled: 1-line block ×16, first 2 shown]
	v_fma_f64 v[92:93], v[56:57], 2.0, -v[19:20]
	v_fma_f64 v[94:95], v[58:59], 2.0, -v[21:22]
	;; [unrolled: 1-line block ×16, first 2 shown]
	ds_write_b128 v124, v[19:22] offset:64
	ds_write_b128 v124, v[92:95]
	ds_write_b128 v123, v[60:63]
	buffer_store_dword v123, off, s[40:43], 0 offset:312 ; 4-byte Folded Spill
	ds_write_b128 v123, v[23:26] offset:64
	ds_write_b128 v122, v[68:71]
	buffer_store_dword v122, off, s[40:43], 0 offset:292 ; 4-byte Folded Spill
	ds_write_b128 v122, v[27:30] offset:64
	;; [unrolled: 3-line block ×6, first 2 shown]
	s_and_saveexec_b64 s[2:3], s[0:1]
	s_cbranch_execz .LBB0_15
; %bb.14:
	buffer_load_dword v0, off, s[40:43], 0  ; 4-byte Folded Reload
	s_movk_i32 s14, 0x6f8
	v_and_b32_e32 v1, 3, v43
	s_waitcnt vmcnt(0)
	v_and_or_b32 v0, v0, s14, v1
	v_lshlrev_b32_e32 v0, 4, v0
	ds_write_b128 v0, v[56:59]
	ds_write_b128 v0, v[4:7] offset:64
.LBB0_15:
	s_or_b64 exec, exec, s[2:3]
	s_waitcnt vmcnt(0) lgkmcnt(0)
	s_barrier
	ds_read_b128 v[0:3], v42
	ds_read_b128 v[60:63], v42 offset:1792
	ds_read_b128 v[72:75], v42 offset:15232
	;; [unrolled: 1-line block ×13, first 2 shown]
	s_and_saveexec_b64 s[2:3], s[0:1]
	s_cbranch_execz .LBB0_17
; %bb.16:
	ds_read_b128 v[56:59], v42 offset:12544
	ds_read_b128 v[4:7], v42 offset:25984
.LBB0_17:
	s_or_b64 exec, exec, s[2:3]
	v_and_b32_e32 v15, 7, v43
	v_lshlrev_b32_e32 v14, 4, v15
	global_load_dwordx4 v[144:147], v14, s[4:5] offset:96
	s_movk_i32 s3, 0x1f0
	s_movk_i32 s14, 0x3f0
	s_movk_i32 s15, 0x7f0
	s_movk_i32 s2, 0xf0
	s_movk_i32 s16, 0x5f0
	v_and_or_b32 v8, v8, s3, v15
	v_and_or_b32 v9, v9, s14, v15
	;; [unrolled: 1-line block ×7, first 2 shown]
	v_lshlrev_b32_e32 v116, 4, v8
	v_lshlrev_b32_e32 v115, 4, v9
	;; [unrolled: 1-line block ×7, first 2 shown]
	s_waitcnt vmcnt(0) lgkmcnt(0)
	s_barrier
	buffer_store_dword v117, off, s[40:43], 0 offset:332 ; 4-byte Folded Spill
	v_mul_f64 v[8:9], v[110:111], v[146:147]
	v_mul_f64 v[10:11], v[108:109], v[146:147]
	;; [unrolled: 1-line block ×16, first 2 shown]
	v_fma_f64 v[8:9], v[108:109], v[144:145], -v[8:9]
	v_fma_f64 v[10:11], v[110:111], v[144:145], v[10:11]
	v_fma_f64 v[12:13], v[72:73], v[144:145], -v[12:13]
	v_fma_f64 v[14:15], v[74:75], v[144:145], v[14:15]
	;; [unrolled: 2-line block ×8, first 2 shown]
	v_add_f64 v[4:5], v[0:1], -v[8:9]
	v_add_f64 v[6:7], v[2:3], -v[10:11]
	;; [unrolled: 1-line block ×16, first 2 shown]
	v_fma_f64 v[0:1], v[0:1], 2.0, -v[4:5]
	v_fma_f64 v[2:3], v[2:3], 2.0, -v[6:7]
	;; [unrolled: 1-line block ×14, first 2 shown]
	ds_write_b128 v117, v[4:7] offset:128
	ds_write_b128 v117, v[0:3]
	ds_write_b128 v116, v[34:37]
	buffer_store_dword v116, off, s[40:43], 0 offset:328 ; 4-byte Folded Spill
	ds_write_b128 v116, v[8:11] offset:128
	ds_write_b128 v115, v[60:63]
	buffer_store_dword v115, off, s[40:43], 0 offset:324 ; 4-byte Folded Spill
	ds_write_b128 v115, v[12:15] offset:128
	;; [unrolled: 3-line block ×6, first 2 shown]
	s_and_saveexec_b64 s[2:3], s[0:1]
	s_cbranch_execz .LBB0_19
; %bb.18:
	buffer_load_dword v4, off, s[40:43], 0  ; 4-byte Folded Reload
	v_fma_f64 v[2:3], v[58:59], 2.0, -v[74:75]
	v_fma_f64 v[0:1], v[56:57], 2.0, -v[72:73]
	s_movk_i32 s14, 0x6f0
	v_and_b32_e32 v5, 7, v43
	s_waitcnt vmcnt(0)
	v_and_or_b32 v4, v4, s14, v5
	v_lshlrev_b32_e32 v4, 4, v4
	ds_write_b128 v4, v[0:3]
	ds_write_b128 v4, v[72:75] offset:128
.LBB0_19:
	s_or_b64 exec, exec, s[2:3]
	v_and_b32_e32 v41, 15, v43
	v_lshlrev_b32_e32 v0, 5, v41
	s_waitcnt vmcnt(0) lgkmcnt(0)
	s_barrier
	global_load_dwordx4 v[140:143], v0, s[4:5] offset:224
	global_load_dwordx4 v[136:139], v0, s[4:5] offset:240
	ds_read_b128 v[0:3], v42
	ds_read_b128 v[4:7], v42 offset:1792
	ds_read_b128 v[8:11], v42 offset:17920
	;; [unrolled: 1-line block ×14, first 2 shown]
	s_mov_b32 s2, 0xe8584caa
	s_mov_b32 s3, 0x3febb67a
	;; [unrolled: 1-line block ×4, first 2 shown]
	s_waitcnt vmcnt(0) lgkmcnt(0)
	s_barrier
	s_waitcnt lgkmcnt(0)
                                        ; implicit-def: $vgpr168_vgpr169
                                        ; implicit-def: $vgpr172_vgpr173
                                        ; implicit-def: $vgpr160_vgpr161
                                        ; implicit-def: $vgpr164_vgpr165
	v_mul_f64 v[38:39], v[62:63], v[142:143]
	v_mul_f64 v[84:85], v[60:61], v[142:143]
	;; [unrolled: 1-line block ×13, first 2 shown]
	v_fma_f64 v[38:39], v[60:61], v[140:141], -v[38:39]
	v_fma_f64 v[60:61], v[62:63], v[140:141], v[84:85]
	v_fma_f64 v[8:9], v[8:9], v[136:137], -v[86:87]
	v_fma_f64 v[10:11], v[10:11], v[136:137], v[88:89]
	v_fma_f64 v[20:21], v[20:21], v[140:141], v[92:93]
	;; [unrolled: 1-line block ×3, first 2 shown]
	v_mul_f64 v[98:99], v[24:25], v[142:143]
	v_mul_f64 v[102:103], v[36:37], v[138:139]
	;; [unrolled: 1-line block ×5, first 2 shown]
	v_fma_f64 v[18:19], v[18:19], v[140:141], -v[90:91]
	v_fma_f64 v[12:13], v[12:13], v[136:137], -v[94:95]
	v_fma_f64 v[24:25], v[24:25], v[140:141], v[100:101]
	v_fma_f64 v[36:37], v[36:37], v[136:137], v[104:105]
	v_fma_f64 v[84:85], v[68:69], v[140:141], -v[106:107]
	v_fma_f64 v[86:87], v[56:57], v[136:137], -v[110:111]
	v_fma_f64 v[88:89], v[58:59], v[136:137], v[112:113]
	v_add_f64 v[56:57], v[0:1], v[38:39]
	v_add_f64 v[58:59], v[38:39], v[8:9]
	v_add_f64 v[62:63], v[60:61], -v[10:11]
	v_add_f64 v[68:69], v[2:3], v[60:61]
	v_add_f64 v[60:61], v[60:61], v[10:11]
	v_add_f64 v[94:95], v[20:21], -v[14:15]
	v_add_f64 v[96:97], v[6:7], v[20:21]
	v_add_f64 v[20:21], v[20:21], v[14:15]
	v_mul_f64 v[114:115], v[78:79], v[142:143]
	v_mul_f64 v[118:119], v[82:83], v[138:139]
	v_fma_f64 v[22:23], v[22:23], v[140:141], -v[98:99]
	v_fma_f64 v[34:35], v[34:35], v[136:137], -v[102:103]
	v_fma_f64 v[70:71], v[70:71], v[140:141], v[108:109]
	v_fma_f64 v[78:79], v[78:79], v[140:141], v[116:117]
	;; [unrolled: 1-line block ×3, first 2 shown]
	v_add_f64 v[38:39], v[38:39], -v[8:9]
	v_add_f64 v[90:91], v[4:5], v[18:19]
	v_add_f64 v[92:93], v[18:19], v[12:13]
	v_add_f64 v[98:99], v[18:19], -v[12:13]
	v_add_f64 v[102:103], v[24:25], -v[36:37]
	v_add_f64 v[104:105], v[28:29], v[24:25]
	v_add_f64 v[24:25], v[24:25], v[36:37]
	;; [unrolled: 1-line block ×3, first 2 shown]
	v_fma_f64 v[56:57], v[58:59], -0.5, v[0:1]
	v_fma_f64 v[58:59], v[60:61], -0.5, v[2:3]
	v_add_f64 v[2:3], v[96:97], v[14:15]
	v_fma_f64 v[14:15], v[20:21], -0.5, v[6:7]
	v_fma_f64 v[76:77], v[76:77], v[140:141], -v[114:115]
	v_fma_f64 v[80:81], v[80:81], v[136:137], -v[118:119]
	v_add_f64 v[100:101], v[22:23], v[34:35]
	v_add_f64 v[108:109], v[84:85], v[86:87]
	;; [unrolled: 1-line block ×3, first 2 shown]
	v_add_f64 v[106:107], v[22:23], -v[34:35]
	v_add_f64 v[22:23], v[30:31], v[84:85]
	v_add_f64 v[112:113], v[70:71], v[88:89]
	;; [unrolled: 1-line block ×3, first 2 shown]
	v_fma_f64 v[60:61], v[92:93], -0.5, v[4:5]
	v_add_f64 v[6:7], v[104:105], v[36:37]
	v_fma_f64 v[90:91], v[24:25], -0.5, v[28:29]
	v_fma_f64 v[20:21], v[38:39], s[14:15], v[58:59]
	v_fma_f64 v[24:25], v[38:39], s[2:3], v[58:59]
	;; [unrolled: 1-line block ×4, first 2 shown]
	v_add_f64 v[14:15], v[78:79], v[82:83]
	v_add_f64 v[38:39], v[32:33], v[70:71]
	v_add_f64 v[110:111], v[70:71], -v[88:89]
	v_add_f64 v[114:115], v[76:77], v[80:81]
	v_add_f64 v[10:11], v[68:69], v[10:11]
	v_fma_f64 v[68:69], v[100:101], -0.5, v[26:27]
	v_fma_f64 v[92:93], v[108:109], -0.5, v[30:31]
	v_add_f64 v[4:5], v[18:19], v[34:35]
	v_fma_f64 v[18:19], v[62:63], s[2:3], v[56:57]
	v_add_f64 v[12:13], v[22:23], v[86:87]
	v_fma_f64 v[22:23], v[62:63], s[14:15], v[56:57]
	v_fma_f64 v[26:27], v[94:95], s[2:3], v[60:61]
	;; [unrolled: 1-line block ×3, first 2 shown]
	v_fma_f64 v[70:71], v[112:113], -0.5, v[32:33]
	v_add_f64 v[84:85], v[84:85], -v[86:87]
	v_fma_f64 v[94:95], v[14:15], -0.5, v[66:67]
	v_add_f64 v[14:15], v[38:39], v[88:89]
	v_lshrrev_b32_e32 v38, 4, v43
	v_mul_u32_u24_e32 v38, 48, v38
	v_or_b32_e32 v38, v38, v41
	v_lshlrev_b32_e32 v38, 4, v38
	v_fma_f64 v[56:57], v[102:103], s[2:3], v[68:69]
	v_fma_f64 v[60:61], v[102:103], s[14:15], v[68:69]
	;; [unrolled: 1-line block ×6, first 2 shown]
	v_add_f64 v[86:87], v[64:65], v[76:77]
	v_fma_f64 v[90:91], v[114:115], -0.5, v[64:65]
	v_add_f64 v[92:93], v[78:79], -v[82:83]
	v_add_f64 v[78:79], v[66:67], v[78:79]
	v_add_f64 v[96:97], v[76:77], -v[80:81]
	ds_write_b128 v38, v[8:11]
	ds_write_b128 v38, v[18:21] offset:256
	v_lshrrev_b32_e32 v8, 4, v46
	v_mul_u32_u24_e32 v8, 48, v8
	v_or_b32_e32 v8, v8, v41
	v_lshlrev_b32_e32 v8, 4, v8
	v_fma_f64 v[32:33], v[84:85], s[14:15], v[70:71]
	v_fma_f64 v[70:71], v[84:85], s[2:3], v[70:71]
	buffer_store_dword v38, off, s[40:43], 0 offset:208 ; 4-byte Folded Spill
	ds_write_b128 v38, v[22:25] offset:512
	ds_write_b128 v8, v[0:3]
	ds_write_b128 v8, v[26:29] offset:256
	v_lshrrev_b32_e32 v0, 4, v45
	v_mul_u32_u24_e32 v0, 48, v0
	v_or_b32_e32 v0, v0, v41
	v_lshlrev_b32_e32 v0, 4, v0
	v_add_f64 v[64:65], v[86:87], v[80:81]
	v_fma_f64 v[148:149], v[92:93], s[14:15], v[90:91]
	v_add_f64 v[66:67], v[78:79], v[82:83]
	v_fma_f64 v[150:151], v[96:97], s[2:3], v[94:95]
	buffer_store_dword v8, off, s[40:43], 0 offset:212 ; 4-byte Folded Spill
	ds_write_b128 v8, v[34:37] offset:512
	ds_write_b128 v0, v[4:7]
	ds_write_b128 v0, v[56:59] offset:256
	buffer_store_dword v0, off, s[40:43], 0 offset:216 ; 4-byte Folded Spill
	ds_write_b128 v0, v[60:63] offset:512
	v_lshrrev_b32_e32 v0, 4, v17
	v_fma_f64 v[76:77], v[92:93], s[2:3], v[90:91]
	v_fma_f64 v[78:79], v[96:97], s[14:15], v[94:95]
	v_mul_u32_u24_e32 v0, 48, v0
	v_or_b32_e32 v0, v0, v41
	v_lshlrev_b32_e32 v0, 4, v0
	ds_write_b128 v0, v[12:15]
	ds_write_b128 v0, v[30:33] offset:256
	buffer_store_dword v0, off, s[40:43], 0 offset:220 ; 4-byte Folded Spill
	ds_write_b128 v0, v[68:71] offset:512
	v_lshrrev_b32_e32 v0, 4, v16
	v_mul_u32_u24_e32 v0, 48, v0
	v_or_b32_e32 v0, v0, v41
	v_lshlrev_b32_e32 v0, 4, v0
	ds_write_b128 v0, v[64:67]
	ds_write_b128 v0, v[76:79] offset:256
	buffer_store_dword v0, off, s[40:43], 0 offset:224 ; 4-byte Folded Spill
	ds_write_b128 v0, v[148:151] offset:512
	s_waitcnt vmcnt(0) lgkmcnt(0)
	s_barrier
	ds_read_b128 v[156:159], v42
	ds_read_b128 v[152:155], v42 offset:1792
	ds_read_b128 v[104:107], v42 offset:3840
	;; [unrolled: 1-line block ×13, first 2 shown]
	v_cmp_gt_u16_e64 s[2:3], 16, v43
                                        ; implicit-def: $vgpr76_vgpr77
	s_and_saveexec_b64 s[14:15], s[2:3]
	s_cbranch_execz .LBB0_21
; %bb.20:
	ds_read_b128 v[148:151], v42 offset:3584
	ds_read_b128 v[72:75], v42 offset:7424
	;; [unrolled: 1-line block ×7, first 2 shown]
.LBB0_21:
	s_or_b64 exec, exec, s[14:15]
	s_movk_i32 s16, 0xab
	v_mul_lo_u16_sdwa v8, v43, s16 dst_sel:DWORD dst_unused:UNUSED_PAD src0_sel:BYTE_0 src1_sel:DWORD
	v_lshrrev_b16_e32 v36, 13, v8
	v_mul_lo_u16_e32 v8, 48, v36
	v_sub_u16_e32 v8, v43, v8
	v_and_b32_e32 v38, 0xff, v8
	v_mov_b32_e32 v9, s5
	s_movk_i32 s18, 0x60
	v_mov_b32_e32 v8, s4
	v_mad_u64_u32 v[10:11], s[14:15], v38, s18, v[8:9]
	global_load_dwordx4 v[100:103], v[10:11], off offset:784
	global_load_dwordx4 v[112:115], v[10:11], off offset:768
	;; [unrolled: 1-line block ×6, first 2 shown]
	s_mov_b32 s22, 0xe976ee23
	s_mov_b32 s20, 0x429ad128
	;; [unrolled: 1-line block ×16, first 2 shown]
	s_waitcnt vmcnt(2) lgkmcnt(11)
	v_mul_f64 v[12:13], v[106:107], v[126:127]
	s_waitcnt vmcnt(0) lgkmcnt(3)
	v_mul_f64 v[10:11], v[86:87], v[118:119]
	v_fma_f64 v[178:179], v[104:105], v[124:125], -v[12:13]
	v_mul_f64 v[12:13], v[104:105], v[126:127]
	v_fma_f64 v[194:195], v[84:85], v[116:117], -v[10:11]
	v_mul_f64 v[10:11], v[84:85], v[118:119]
	v_fma_f64 v[184:185], v[106:107], v[124:125], v[12:13]
	v_mul_f64 v[12:13], v[98:99], v[122:123]
	v_fma_f64 v[196:197], v[86:87], v[116:117], v[10:11]
	s_waitcnt lgkmcnt(1)
	v_mul_f64 v[10:11], v[82:83], v[110:111]
	v_fma_f64 v[180:181], v[96:97], v[120:121], -v[12:13]
	v_mul_f64 v[12:13], v[96:97], v[122:123]
	v_fma_f64 v[198:199], v[80:81], v[108:109], -v[10:11]
	v_mul_f64 v[10:11], v[80:81], v[110:111]
	v_fma_f64 v[186:187], v[98:99], v[120:121], v[12:13]
	v_mul_f64 v[12:13], v[94:95], v[114:115]
	v_fma_f64 v[200:201], v[82:83], v[108:109], v[10:11]
	v_mul_lo_u16_sdwa v10, v46, s16 dst_sel:DWORD dst_unused:UNUSED_PAD src0_sel:BYTE_0 src1_sel:DWORD
	v_lshrrev_b16_e32 v37, 13, v10
	v_mul_lo_u16_e32 v10, 48, v37
	v_sub_u16_e32 v10, v46, v10
	v_and_b32_e32 v39, 0xff, v10
	v_mad_u64_u32 v[24:25], s[14:15], v39, s18, v[8:9]
	v_fma_f64 v[182:183], v[92:93], v[112:113], -v[12:13]
	v_mul_f64 v[12:13], v[92:93], v[114:115]
	s_mov_b32 s14, 0xaaab
	s_mov_b32 s18, 0x37e14327
	;; [unrolled: 1-line block ×3, first 2 shown]
	v_fma_f64 v[188:189], v[94:95], v[112:113], v[12:13]
	v_mul_f64 v[12:13], v[90:91], v[102:103]
	v_fma_f64 v[190:191], v[88:89], v[100:101], -v[12:13]
	v_mul_f64 v[12:13], v[88:89], v[102:103]
	v_fma_f64 v[192:193], v[90:91], v[100:101], v[12:13]
	global_load_dwordx4 v[88:91], v[24:25], off offset:784
	global_load_dwordx4 v[92:95], v[24:25], off offset:768
	;; [unrolled: 1-line block ×6, first 2 shown]
	s_waitcnt vmcnt(5)
	v_mul_f64 v[20:21], v[58:59], v[90:91]
	s_waitcnt vmcnt(4)
	v_mul_f64 v[18:19], v[60:61], v[94:95]
	s_waitcnt vmcnt(3)
	v_mul_f64 v[12:13], v[64:65], v[98:99]
	s_waitcnt vmcnt(2)
	v_mul_f64 v[10:11], v[68:69], v[106:107]
	s_waitcnt vmcnt(0)
	v_mul_f64 v[24:25], v[6:7], v[86:87]
	v_mul_f64 v[8:9], v[70:71], v[106:107]
	v_mul_f64 v[22:23], v[56:57], v[90:91]
	v_fma_f64 v[20:21], v[56:57], v[88:89], -v[20:21]
	v_fma_f64 v[18:19], v[62:63], v[92:93], v[18:19]
	v_fma_f64 v[16:17], v[66:67], v[96:97], v[12:13]
	;; [unrolled: 1-line block ×3, first 2 shown]
	v_fma_f64 v[176:177], v[4:5], v[84:85], -v[24:25]
	v_mul_f64 v[4:5], v[4:5], v[86:87]
	v_mul_f64 v[10:11], v[66:67], v[98:99]
	v_mul_f64 v[12:13], v[62:63], v[94:95]
	v_fma_f64 v[8:9], v[68:69], v[104:105], -v[8:9]
	v_fma_f64 v[22:23], v[58:59], v[88:89], v[22:23]
	v_fma_f64 v[4:5], v[6:7], v[84:85], v[4:5]
	s_waitcnt lgkmcnt(0)
	v_mul_f64 v[6:7], v[2:3], v[82:83]
	v_fma_f64 v[10:11], v[64:65], v[96:97], -v[10:11]
	v_fma_f64 v[12:13], v[60:61], v[92:93], -v[12:13]
	;; [unrolled: 1-line block ×3, first 2 shown]
	v_mul_f64 v[0:1], v[0:1], v[82:83]
	v_fma_f64 v[0:1], v[2:3], v[80:81], v[0:1]
	v_mul_u32_u24_sdwa v2, v45, s14 dst_sel:DWORD dst_unused:UNUSED_PAD src0_sel:WORD_0 src1_sel:DWORD
	v_lshrrev_b32_e32 v2, 21, v2
	v_mul_lo_u16_e32 v2, 48, v2
	v_sub_u16_e32 v47, v45, v2
	v_mul_lo_u16_e32 v2, 0x60, v47
	v_add_co_u32_e32 v202, vcc, s4, v2
	v_mov_b32_e32 v2, s5
	v_addc_co_u32_e32 v203, vcc, 0, v2, vcc
	global_load_dwordx4 v[56:59], v[202:203], off offset:784
	global_load_dwordx4 v[60:63], v[202:203], off offset:768
	global_load_dwordx4 v[64:67], v[202:203], off offset:752
	global_load_dwordx4 v[68:71], v[202:203], off offset:736
	s_mov_b32 s14, 0x36b3c0b5
	s_mov_b32 s15, 0x3fac98ee
	s_waitcnt vmcnt(3)
	v_mul_f64 v[34:35], v[174:175], v[58:59]
	s_waitcnt vmcnt(2)
	v_mul_f64 v[32:33], v[168:169], v[62:63]
	;; [unrolled: 2-line block ×4, first 2 shown]
	v_mul_f64 v[24:25], v[72:73], v[70:71]
	v_fma_f64 v[34:35], v[172:173], v[56:57], -v[34:35]
	v_fma_f64 v[32:33], v[170:171], v[60:61], v[32:33]
	v_fma_f64 v[30:31], v[78:79], v[64:65], v[26:27]
	v_fma_f64 v[2:3], v[72:73], v[68:69], -v[2:3]
	v_fma_f64 v[28:29], v[74:75], v[68:69], v[24:25]
	v_mul_f64 v[24:25], v[78:79], v[66:67]
	v_mul_f64 v[26:27], v[170:171], v[62:63]
	;; [unrolled: 1-line block ×3, first 2 shown]
	v_fma_f64 v[24:25], v[76:77], v[64:65], -v[24:25]
	v_fma_f64 v[26:27], v[168:169], v[60:61], -v[26:27]
	v_fma_f64 v[168:169], v[174:175], v[56:57], v[72:73]
	global_load_dwordx4 v[72:75], v[202:203], off offset:816
	global_load_dwordx4 v[76:79], v[202:203], off offset:800
	s_waitcnt vmcnt(0)
	s_barrier
	v_mul_f64 v[170:171], v[162:163], v[78:79]
	v_fma_f64 v[170:171], v[160:161], v[76:77], -v[170:171]
	v_mul_f64 v[160:161], v[160:161], v[78:79]
	v_fma_f64 v[172:173], v[162:163], v[76:77], v[160:161]
	v_mul_f64 v[160:161], v[166:167], v[74:75]
	v_add_f64 v[162:163], v[184:185], v[200:201]
	v_fma_f64 v[174:175], v[164:165], v[72:73], -v[160:161]
	v_mul_f64 v[160:161], v[164:165], v[74:75]
	v_fma_f64 v[164:165], v[166:167], v[72:73], v[160:161]
	v_add_f64 v[160:161], v[178:179], v[198:199]
	v_add_f64 v[166:167], v[178:179], -v[198:199]
	v_add_f64 v[178:179], v[184:185], -v[200:201]
	v_add_f64 v[184:185], v[180:181], v[194:195]
	v_add_f64 v[198:199], v[186:187], v[196:197]
	v_add_f64 v[180:181], v[180:181], -v[194:195]
	v_add_f64 v[186:187], v[186:187], -v[196:197]
	v_add_f64 v[194:195], v[182:183], v[190:191]
	;; [unrolled: 4-line block ×3, first 2 shown]
	v_add_f64 v[192:193], v[198:199], v[162:163]
	v_add_f64 v[200:201], v[184:185], -v[160:161]
	v_add_f64 v[202:203], v[198:199], -v[162:163]
	;; [unrolled: 1-line block ×6, first 2 shown]
	v_add_f64 v[204:205], v[182:183], v[180:181]
	v_add_f64 v[206:207], v[188:189], v[186:187]
	v_add_f64 v[208:209], v[182:183], -v[180:181]
	v_add_f64 v[210:211], v[188:189], -v[186:187]
	;; [unrolled: 1-line block ×3, first 2 shown]
	v_add_f64 v[190:191], v[194:195], v[190:191]
	v_add_f64 v[192:193], v[196:197], v[192:193]
	v_add_f64 v[182:183], v[166:167], -v[182:183]
	v_add_f64 v[188:189], v[178:179], -v[188:189]
	v_add_f64 v[186:187], v[186:187], -v[178:179]
	v_add_f64 v[166:167], v[204:205], v[166:167]
	v_add_f64 v[178:179], v[206:207], v[178:179]
	v_mul_f64 v[160:161], v[160:161], s[18:19]
	v_add_f64 v[156:157], v[156:157], v[190:191]
	v_add_f64 v[158:159], v[158:159], v[192:193]
	v_mul_f64 v[162:163], v[162:163], s[18:19]
	v_mul_f64 v[194:195], v[184:185], s[14:15]
	;; [unrolled: 1-line block ×7, first 2 shown]
	v_fma_f64 v[190:191], v[190:191], s[24:25], v[156:157]
	v_fma_f64 v[192:193], v[192:193], s[24:25], v[158:159]
	;; [unrolled: 1-line block ×4, first 2 shown]
	v_fma_f64 v[194:195], v[200:201], s[26:27], -v[194:195]
	v_fma_f64 v[196:197], v[202:203], s[26:27], -v[196:197]
	;; [unrolled: 1-line block ×4, first 2 shown]
	v_fma_f64 v[200:201], v[182:183], s[34:35], v[204:205]
	v_fma_f64 v[180:181], v[180:181], s[20:21], -v[204:205]
	v_fma_f64 v[186:187], v[186:187], s[20:21], -v[206:207]
	;; [unrolled: 1-line block ×3, first 2 shown]
	v_fma_f64 v[202:203], v[188:189], s[34:35], v[206:207]
	v_add_f64 v[206:207], v[198:199], v[192:193]
	v_add_f64 v[194:195], v[194:195], v[190:191]
	;; [unrolled: 1-line block ×4, first 2 shown]
	v_fma_f64 v[208:209], v[166:167], s[28:29], v[200:201]
	v_fma_f64 v[200:201], v[166:167], s[28:29], v[180:181]
	;; [unrolled: 1-line block ×4, first 2 shown]
	v_fma_f64 v[188:189], v[188:189], s[36:37], -v[210:211]
	v_fma_f64 v[210:211], v[178:179], s[28:29], v[202:203]
	v_add_f64 v[204:205], v[184:185], v[190:191]
	v_add_f64 v[190:191], v[160:161], v[190:191]
	v_add_f64 v[162:163], v[206:207], -v[208:209]
	v_add_f64 v[184:185], v[200:201], v[198:199]
	v_add_f64 v[182:183], v[194:195], -v[186:187]
	v_add_f64 v[180:181], v[192:193], -v[166:167]
	v_add_f64 v[196:197], v[186:187], v[194:195]
	v_add_f64 v[202:203], v[166:167], v[192:193]
	;; [unrolled: 1-line block ×4, first 2 shown]
	v_add_f64 v[6:7], v[8:9], -v[6:7]
	v_add_f64 v[0:1], v[14:15], -v[0:1]
	v_add_f64 v[8:9], v[10:11], v[176:177]
	v_add_f64 v[14:15], v[16:17], v[4:5]
	v_fma_f64 v[188:189], v[178:179], s[28:29], v[188:189]
	v_add_f64 v[10:11], v[10:11], -v[176:177]
	v_add_f64 v[4:5], v[16:17], -v[4:5]
	v_add_f64 v[16:17], v[12:13], v[20:21]
	v_add_f64 v[176:177], v[18:19], v[22:23]
	v_add_f64 v[12:13], v[20:21], -v[12:13]
	v_add_f64 v[18:19], v[22:23], -v[18:19]
	v_add_f64 v[20:21], v[8:9], v[166:167]
	v_add_f64 v[22:23], v[14:15], v[186:187]
	;; [unrolled: 1-line block ×4, first 2 shown]
	v_add_f64 v[198:199], v[198:199], -v[200:201]
	v_add_f64 v[200:201], v[190:191], -v[188:189]
	;; [unrolled: 1-line block ×3, first 2 shown]
	v_add_f64 v[206:207], v[208:209], v[206:207]
	v_add_f64 v[188:189], v[8:9], -v[166:167]
	v_add_f64 v[190:191], v[14:15], -v[186:187]
	;; [unrolled: 1-line block ×6, first 2 shown]
	v_add_f64 v[192:193], v[12:13], v[10:11]
	v_add_f64 v[208:209], v[12:13], -v[10:11]
	v_add_f64 v[210:211], v[18:19], -v[4:5]
	;; [unrolled: 1-line block ×3, first 2 shown]
	v_add_f64 v[16:17], v[16:17], v[20:21]
	v_add_f64 v[20:21], v[176:177], v[22:23]
	;; [unrolled: 1-line block ×3, first 2 shown]
	v_add_f64 v[12:13], v[6:7], -v[12:13]
	v_add_f64 v[18:19], v[0:1], -v[18:19]
	v_add_f64 v[10:11], v[10:11], -v[6:7]
	v_add_f64 v[22:23], v[192:193], v[6:7]
	v_mul_f64 v[176:177], v[14:15], s[14:15]
	v_add_f64 v[4:5], v[152:153], v[16:17]
	v_add_f64 v[6:7], v[154:155], v[20:21]
	v_mul_f64 v[152:153], v[166:167], s[18:19]
	v_mul_f64 v[154:155], v[186:187], s[18:19]
	;; [unrolled: 1-line block ×6, first 2 shown]
	v_add_f64 v[0:1], v[194:195], v[0:1]
	v_mul_f64 v[194:195], v[10:11], s[20:21]
	v_fma_f64 v[16:17], v[16:17], s[24:25], v[4:5]
	v_fma_f64 v[20:21], v[20:21], s[24:25], v[6:7]
	;; [unrolled: 1-line block ×4, first 2 shown]
	v_fma_f64 v[166:167], v[188:189], s[26:27], -v[166:167]
	v_fma_f64 v[176:177], v[190:191], s[26:27], -v[176:177]
	;; [unrolled: 1-line block ×4, first 2 shown]
	v_fma_f64 v[188:189], v[12:13], s[34:35], v[186:187]
	v_fma_f64 v[190:191], v[18:19], s[34:35], v[192:193]
	v_fma_f64 v[10:11], v[10:11], s[20:21], -v[186:187]
	v_fma_f64 v[186:187], v[212:213], s[20:21], -v[192:193]
	;; [unrolled: 1-line block ×4, first 2 shown]
	v_add_f64 v[194:195], v[14:15], v[20:21]
	v_add_f64 v[166:167], v[166:167], v[16:17]
	v_add_f64 v[176:177], v[176:177], v[20:21]
	v_add_f64 v[152:153], v[152:153], v[16:17]
	v_add_f64 v[154:155], v[154:155], v[20:21]
	v_fma_f64 v[190:191], v[0:1], s[28:29], v[190:191]
	v_fma_f64 v[20:21], v[0:1], s[28:29], v[186:187]
	v_fma_f64 v[0:1], v[0:1], s[28:29], v[18:19]
	v_add_f64 v[192:193], v[8:9], v[16:17]
	v_fma_f64 v[186:187], v[22:23], s[28:29], v[12:13]
	v_fma_f64 v[188:189], v[22:23], s[28:29], v[188:189]
	;; [unrolled: 1-line block ×3, first 2 shown]
	v_add_f64 v[16:17], v[166:167], -v[20:21]
	v_add_f64 v[12:13], v[0:1], v[152:153]
	v_add_f64 v[20:21], v[20:21], v[166:167]
	v_add_f64 v[152:153], v[152:153], -v[0:1]
	v_add_f64 v[0:1], v[2:3], v[174:175]
	v_add_f64 v[166:167], v[28:29], v[164:165]
	v_add_f64 v[2:3], v[2:3], -v[174:175]
	v_add_f64 v[28:29], v[28:29], -v[164:165]
	v_add_f64 v[164:165], v[24:25], v[170:171]
	v_add_f64 v[174:175], v[30:31], v[172:173]
	v_add_f64 v[24:25], v[24:25], -v[170:171]
	;; [unrolled: 4-line block ×3, first 2 shown]
	v_add_f64 v[32:33], v[168:169], -v[32:33]
	v_add_f64 v[34:35], v[164:165], v[0:1]
	v_add_f64 v[168:169], v[174:175], v[166:167]
	;; [unrolled: 1-line block ×3, first 2 shown]
	v_add_f64 v[10:11], v[194:195], -v[188:189]
	v_add_f64 v[14:15], v[154:155], -v[186:187]
	v_add_f64 v[18:19], v[208:209], v[176:177]
	v_add_f64 v[22:23], v[176:177], -v[208:209]
	v_add_f64 v[154:155], v[186:187], v[154:155]
	;; [unrolled: 2-line block ×3, first 2 shown]
	v_add_f64 v[176:177], v[164:165], -v[0:1]
	v_add_f64 v[186:187], v[174:175], -v[166:167]
	;; [unrolled: 1-line block ×6, first 2 shown]
	v_add_f64 v[0:1], v[26:27], v[24:25]
	v_add_f64 v[190:191], v[32:33], v[30:31]
	v_add_f64 v[192:193], v[26:27], -v[24:25]
	v_add_f64 v[194:195], v[32:33], -v[30:31]
	;; [unrolled: 1-line block ×4, first 2 shown]
	v_add_f64 v[34:35], v[170:171], v[34:35]
	v_add_f64 v[168:169], v[172:173], v[168:169]
	v_add_f64 v[26:27], v[2:3], -v[26:27]
	v_add_f64 v[32:33], v[28:29], -v[32:33]
	v_add_f64 v[170:171], v[0:1], v[2:3]
	v_add_f64 v[28:29], v[190:191], v[28:29]
	v_mul_f64 v[172:173], v[174:175], s[14:15]
	v_mul_f64 v[190:191], v[194:195], s[22:23]
	v_add_f64 v[0:1], v[148:149], v[34:35]
	v_add_f64 v[2:3], v[150:151], v[168:169]
	v_mul_f64 v[148:149], v[188:189], s[18:19]
	v_mul_f64 v[150:151], v[166:167], s[18:19]
	;; [unrolled: 1-line block ×6, first 2 shown]
	v_fma_f64 v[34:35], v[34:35], s[24:25], v[0:1]
	v_fma_f64 v[168:169], v[168:169], s[24:25], v[2:3]
	;; [unrolled: 1-line block ×4, first 2 shown]
	v_fma_f64 v[166:167], v[176:177], s[26:27], -v[166:167]
	v_fma_f64 v[172:173], v[186:187], s[26:27], -v[172:173]
	;; [unrolled: 1-line block ×4, first 2 shown]
	v_fma_f64 v[176:177], v[26:27], s[34:35], v[188:189]
	v_fma_f64 v[186:187], v[32:33], s[34:35], v[190:191]
	v_fma_f64 v[24:25], v[24:25], s[20:21], -v[188:189]
	v_fma_f64 v[30:31], v[30:31], s[20:21], -v[190:191]
	;; [unrolled: 1-line block ×4, first 2 shown]
	v_add_f64 v[192:193], v[164:165], v[34:35]
	v_add_f64 v[194:195], v[174:175], v[168:169]
	;; [unrolled: 1-line block ×6, first 2 shown]
	v_fma_f64 v[150:151], v[170:171], s[28:29], v[176:177]
	v_fma_f64 v[176:177], v[28:29], s[28:29], v[186:187]
	v_fma_f64 v[24:25], v[170:171], s[28:29], v[24:25]
	v_fma_f64 v[30:31], v[28:29], s[28:29], v[30:31]
	v_fma_f64 v[26:27], v[170:171], s[28:29], v[26:27]
	v_fma_f64 v[28:29], v[28:29], s[28:29], v[32:33]
	v_add_f64 v[218:219], v[194:195], -v[150:151]
	v_add_f64 v[216:217], v[176:177], v[192:193]
	v_add_f64 v[170:171], v[24:25], v[188:189]
	v_add_f64 v[168:169], v[174:175], -v[30:31]
	v_add_f64 v[166:167], v[148:149], -v[26:27]
	v_add_f64 v[164:165], v[28:29], v[34:35]
	v_add_f64 v[172:173], v[30:31], v[174:175]
	v_add_f64 v[174:175], v[188:189], -v[24:25]
	v_add_f64 v[188:189], v[34:35], -v[28:29]
	v_add_f64 v[190:191], v[26:27], v[148:149]
	v_add_f64 v[192:193], v[192:193], -v[176:177]
	v_add_f64 v[194:195], v[150:151], v[194:195]
	v_mul_u32_u24_e32 v24, 0x150, v36
	v_add_lshl_u32 v41, v24, v38, 4
	v_mul_u32_u24_e32 v24, 0x150, v37
	v_add_lshl_u32 v44, v24, v39, 4
	ds_write_b128 v41, v[156:159]
	ds_write_b128 v41, v[160:163] offset:768
	ds_write_b128 v41, v[178:181] offset:1536
	;; [unrolled: 1-line block ×6, first 2 shown]
	ds_write_b128 v44, v[4:7]
	ds_write_b128 v44, v[8:11] offset:768
	ds_write_b128 v44, v[12:15] offset:1536
	;; [unrolled: 1-line block ×6, first 2 shown]
	v_lshlrev_b32_e32 v4, 4, v47
	buffer_store_dword v4, off, s[40:43], 0 offset:336 ; 4-byte Folded Spill
	s_and_saveexec_b64 s[14:15], s[2:3]
	s_cbranch_execz .LBB0_23
; %bb.22:
	buffer_load_dword v4, off, s[40:43], 0 offset:336 ; 4-byte Folded Reload
	s_waitcnt vmcnt(0)
	ds_write_b128 v4, v[0:3] offset:21504
	ds_write_b128 v4, v[216:219] offset:22272
	;; [unrolled: 1-line block ×7, first 2 shown]
.LBB0_23:
	s_or_b64 exec, exec, s[14:15]
	v_mov_b32_e32 v0, s17
	v_addc_co_u32_e64 v47, vcc, 0, v0, s[6:7]
	v_lshlrev_b32_e32 v24, 6, v43
	v_add_co_u32_e32 v26, vcc, s4, v24
	v_mov_b32_e32 v32, s5
	v_addc_co_u32_e32 v27, vcc, 0, v32, vcc
	s_movk_i32 s6, 0x14e0
	v_add_co_u32_e32 v24, vcc, s6, v26
	v_addc_co_u32_e32 v25, vcc, 0, v27, vcc
	s_movk_i32 s5, 0x1000
	v_add_co_u32_e32 v26, vcc, s5, v26
	v_addc_co_u32_e32 v27, vcc, 0, v27, vcc
	s_waitcnt vmcnt(0) lgkmcnt(0)
	s_barrier
	ds_read_b128 v[230:233], v42
	ds_read_b128 v[0:3], v42 offset:5376
	ds_read_b128 v[4:7], v42 offset:10752
	;; [unrolled: 1-line block ×14, first 2 shown]
	global_load_dwordx4 v[152:155], v[26:27], off offset:1248
	global_load_dwordx4 v[148:151], v[24:25], off offset:48
	;; [unrolled: 1-line block ×4, first 2 shown]
	s_mov_b32 s14, 0x134454ff
	s_mov_b32 s15, 0x3fee6f0e
	;; [unrolled: 1-line block ×5, first 2 shown]
	s_waitcnt vmcnt(3) lgkmcnt(13)
	v_mul_f64 v[24:25], v[2:3], v[154:155]
	v_fma_f64 v[36:37], v[0:1], v[152:153], -v[24:25]
	v_mul_f64 v[0:1], v[0:1], v[154:155]
	v_fma_f64 v[0:1], v[2:3], v[152:153], v[0:1]
	s_waitcnt vmcnt(0) lgkmcnt(12)
	v_mul_f64 v[2:3], v[6:7], v[162:163]
	v_fma_f64 v[250:251], v[4:5], v[160:161], -v[2:3]
	v_mul_f64 v[2:3], v[4:5], v[162:163]
	v_fma_f64 v[4:5], v[6:7], v[160:161], v[2:3]
	s_waitcnt lgkmcnt(11)
	v_mul_f64 v[2:3], v[10:11], v[158:159]
	v_fma_f64 v[252:253], v[8:9], v[156:157], -v[2:3]
	v_mul_f64 v[2:3], v[8:9], v[158:159]
	v_fma_f64 v[34:35], v[10:11], v[156:157], v[2:3]
	s_waitcnt lgkmcnt(10)
	v_mul_f64 v[2:3], v[14:15], v[150:151]
	v_fma_f64 v[38:39], v[12:13], v[148:149], -v[2:3]
	v_mul_f64 v[2:3], v[12:13], v[150:151]
	v_fma_f64 v[220:221], v[14:15], v[148:149], v[2:3]
	v_lshlrev_b32_e32 v2, 6, v46
	v_add_co_u32_e32 v6, vcc, s4, v2
	v_addc_co_u32_e32 v7, vcc, 0, v32, vcc
	v_add_co_u32_e32 v2, vcc, s6, v6
	v_addc_co_u32_e32 v3, vcc, 0, v7, vcc
	;; [unrolled: 2-line block ×3, first 2 shown]
	global_load_dwordx4 v[180:183], v[6:7], off offset:1248
	global_load_dwordx4 v[176:179], v[2:3], off offset:48
	;; [unrolled: 1-line block ×4, first 2 shown]
	s_waitcnt vmcnt(3) lgkmcnt(8)
	v_mul_f64 v[2:3], v[18:19], v[182:183]
	v_mul_f64 v[6:7], v[16:17], v[182:183]
	s_waitcnt vmcnt(0) lgkmcnt(7)
	v_mul_f64 v[8:9], v[20:21], v[198:199]
	v_fma_f64 v[2:3], v[16:17], v[180:181], -v[2:3]
	v_fma_f64 v[16:17], v[18:19], v[180:181], v[6:7]
	v_mul_f64 v[6:7], v[22:23], v[198:199]
	v_fma_f64 v[18:19], v[22:23], v[196:197], v[8:9]
	s_waitcnt lgkmcnt(6)
	v_mul_f64 v[8:9], v[30:31], v[186:187]
	v_fma_f64 v[6:7], v[20:21], v[196:197], -v[6:7]
	v_fma_f64 v[26:27], v[28:29], v[184:185], -v[8:9]
	v_mul_f64 v[8:9], v[28:29], v[186:187]
	v_fma_f64 v[20:21], v[30:31], v[184:185], v[8:9]
	s_waitcnt lgkmcnt(5)
	v_mul_f64 v[8:9], v[202:203], v[178:179]
	v_fma_f64 v[30:31], v[200:201], v[176:177], -v[8:9]
	v_mul_f64 v[8:9], v[200:201], v[178:179]
	v_fma_f64 v[22:23], v[202:203], v[176:177], v[8:9]
	v_lshlrev_b32_e32 v8, 6, v45
	v_add_co_u32_e32 v10, vcc, s4, v8
	v_addc_co_u32_e32 v11, vcc, 0, v32, vcc
	v_add_co_u32_e32 v8, vcc, s6, v10
	v_addc_co_u32_e32 v9, vcc, 0, v11, vcc
	;; [unrolled: 2-line block ×3, first 2 shown]
	global_load_dwordx4 v[208:211], v[10:11], off offset:1248
	global_load_dwordx4 v[200:203], v[8:9], off offset:48
	;; [unrolled: 1-line block ×4, first 2 shown]
	v_add_f64 v[45:46], v[230:231], v[36:37]
	s_mov_b32 s6, 0x4755a5e
	s_mov_b32 s7, 0x3fe2cf23
	;; [unrolled: 1-line block ×5, first 2 shown]
	v_add_f64 v[45:46], v[45:46], v[250:251]
	v_add_f64 v[45:46], v[45:46], v[252:253]
	s_waitcnt vmcnt(3) lgkmcnt(3)
	v_mul_f64 v[8:9], v[248:249], v[210:211]
	s_waitcnt vmcnt(2) lgkmcnt(0)
	v_mul_f64 v[14:15], v[236:237], v[202:203]
	s_waitcnt vmcnt(1)
	v_mul_f64 v[12:13], v[240:241], v[206:207]
	s_waitcnt vmcnt(0)
	v_mul_f64 v[10:11], v[244:245], v[214:215]
	v_fma_f64 v[254:255], v[246:247], v[208:209], -v[8:9]
	v_fma_f64 v[32:33], v[234:235], v[200:201], -v[14:15]
	v_mul_f64 v[14:15], v[234:235], v[202:203]
	v_add_f64 v[234:235], v[45:46], v[38:39]
	v_add_f64 v[45:46], v[250:251], v[252:253]
	v_fma_f64 v[24:25], v[242:243], v[212:213], -v[10:11]
	v_mul_f64 v[10:11], v[242:243], v[214:215]
	v_fma_f64 v[28:29], v[238:239], v[204:205], -v[12:13]
	v_mul_f64 v[12:13], v[238:239], v[206:207]
	v_add_f64 v[242:243], v[36:37], -v[250:251]
	v_fma_f64 v[14:15], v[236:237], v[200:201], v[14:15]
	v_add_f64 v[236:237], v[0:1], -v[220:221]
	v_fma_f64 v[45:46], v[45:46], -0.5, v[230:231]
	v_mul_f64 v[8:9], v[246:247], v[210:211]
	v_fma_f64 v[10:11], v[244:245], v[212:213], v[10:11]
	v_add_f64 v[244:245], v[38:39], -v[252:253]
	v_fma_f64 v[12:13], v[240:241], v[204:205], v[12:13]
	v_add_f64 v[240:241], v[4:5], -v[34:35]
	v_add_f64 v[246:247], v[252:253], -v[38:39]
	v_fma_f64 v[238:239], v[236:237], s[14:15], v[45:46]
	v_fma_f64 v[45:46], v[236:237], s[16:17], v[45:46]
	;; [unrolled: 1-line block ×3, first 2 shown]
	v_add_f64 v[244:245], v[242:243], v[244:245]
	v_fma_f64 v[238:239], v[240:241], s[6:7], v[238:239]
	v_fma_f64 v[45:46], v[240:241], s[18:19], v[45:46]
	;; [unrolled: 1-line block ×4, first 2 shown]
	v_add_f64 v[45:46], v[36:37], v[38:39]
	v_add_f64 v[244:245], v[250:251], -v[36:37]
	v_add_f64 v[36:37], v[36:37], -v[38:39]
	;; [unrolled: 1-line block ×3, first 2 shown]
	v_fma_f64 v[45:46], v[45:46], -0.5, v[230:231]
	v_add_f64 v[244:245], v[244:245], v[246:247]
	v_fma_f64 v[230:231], v[240:241], s[16:17], v[45:46]
	v_fma_f64 v[45:46], v[240:241], s[14:15], v[45:46]
	v_add_f64 v[240:241], v[0:1], -v[4:5]
	v_fma_f64 v[230:231], v[236:237], s[6:7], v[230:231]
	v_fma_f64 v[45:46], v[236:237], s[18:19], v[45:46]
	;; [unrolled: 1-line block ×4, first 2 shown]
	v_add_f64 v[45:46], v[232:233], v[0:1]
	v_add_f64 v[244:245], v[220:221], -v[34:35]
	v_add_f64 v[45:46], v[45:46], v[4:5]
	v_add_f64 v[240:241], v[240:241], v[244:245]
	v_add_f64 v[45:46], v[45:46], v[34:35]
	v_add_f64 v[236:237], v[45:46], v[220:221]
	v_add_f64 v[45:46], v[4:5], v[34:35]
	v_fma_f64 v[45:46], v[45:46], -0.5, v[232:233]
	v_fma_f64 v[38:39], v[36:37], s[16:17], v[45:46]
	v_fma_f64 v[38:39], v[250:251], s[18:19], v[38:39]
	;; [unrolled: 1-line block ×6, first 2 shown]
	v_add_f64 v[38:39], v[0:1], v[220:221]
	v_add_f64 v[0:1], v[4:5], -v[0:1]
	v_add_f64 v[4:5], v[34:35], -v[220:221]
	;; [unrolled: 1-line block ×4, first 2 shown]
	v_fma_f64 v[38:39], v[38:39], -0.5, v[232:233]
	v_add_f64 v[0:1], v[0:1], v[4:5]
	v_fma_f64 v[45:46], v[250:251], s[14:15], v[38:39]
	v_fma_f64 v[4:5], v[250:251], s[16:17], v[38:39]
	v_add_f64 v[38:39], v[18:19], -v[20:21]
	v_fma_f64 v[45:46], v[36:37], s[18:19], v[45:46]
	v_fma_f64 v[4:5], v[36:37], s[6:7], v[4:5]
	v_add_f64 v[36:37], v[16:17], -v[22:23]
	v_fma_f64 v[248:249], v[0:1], s[4:5], v[45:46]
	v_fma_f64 v[232:233], v[0:1], s[4:5], v[4:5]
	v_add_f64 v[0:1], v[226:227], v[2:3]
	v_add_f64 v[45:46], v[30:31], -v[26:27]
	v_add_f64 v[0:1], v[0:1], v[6:7]
	v_add_f64 v[34:35], v[34:35], v[45:46]
	;; [unrolled: 1-line block ×5, first 2 shown]
	v_fma_f64 v[0:1], v[0:1], -0.5, v[226:227]
	v_fma_f64 v[4:5], v[36:37], s[14:15], v[0:1]
	v_fma_f64 v[0:1], v[36:37], s[16:17], v[0:1]
	;; [unrolled: 1-line block ×6, first 2 shown]
	v_add_f64 v[34:35], v[2:3], v[30:31]
	v_fma_f64 v[45:46], v[34:35], -0.5, v[226:227]
	v_add_f64 v[226:227], v[26:27], -v[30:31]
	v_add_f64 v[30:31], v[2:3], -v[30:31]
	v_add_f64 v[26:27], v[6:7], -v[26:27]
	v_add_f64 v[6:7], v[16:17], -v[18:19]
	v_fma_f64 v[34:35], v[38:39], s[16:17], v[45:46]
	v_fma_f64 v[38:39], v[38:39], s[14:15], v[45:46]
	v_add_f64 v[220:221], v[220:221], v[226:227]
	v_add_f64 v[45:46], v[28:29], -v[32:33]
	v_fma_f64 v[34:35], v[36:37], s[6:7], v[34:35]
	v_fma_f64 v[36:37], v[36:37], s[18:19], v[38:39]
	v_add_f64 v[38:39], v[22:23], -v[20:21]
	v_fma_f64 v[34:35], v[220:221], s[4:5], v[34:35]
	v_fma_f64 v[226:227], v[220:221], s[4:5], v[36:37]
	v_add_f64 v[36:37], v[228:229], v[16:17]
	v_add_f64 v[38:39], v[6:7], v[38:39]
	;; [unrolled: 1-line block ×6, first 2 shown]
	v_fma_f64 v[36:37], v[36:37], -0.5, v[228:229]
	v_fma_f64 v[2:3], v[30:31], s[16:17], v[36:37]
	v_fma_f64 v[2:3], v[26:27], s[18:19], v[2:3]
	;; [unrolled: 1-line block ×4, first 2 shown]
	v_add_f64 v[36:37], v[16:17], v[22:23]
	v_add_f64 v[16:17], v[18:19], -v[16:17]
	v_add_f64 v[18:19], v[20:21], -v[22:23]
	;; [unrolled: 1-line block ×3, first 2 shown]
	v_fma_f64 v[2:3], v[26:27], s[6:7], v[2:3]
	v_add_f64 v[16:17], v[16:17], v[18:19]
	v_fma_f64 v[2:3], v[38:39], s[4:5], v[2:3]
	v_fma_f64 v[38:39], v[36:37], -0.5, v[228:229]
	v_fma_f64 v[18:19], v[26:27], s[16:17], v[38:39]
	v_fma_f64 v[36:37], v[26:27], s[14:15], v[38:39]
	v_add_f64 v[26:27], v[254:255], -v[24:25]
	v_add_f64 v[38:39], v[32:33], -v[28:29]
	v_fma_f64 v[18:19], v[30:31], s[6:7], v[18:19]
	v_fma_f64 v[36:37], v[30:31], s[18:19], v[36:37]
	v_add_f64 v[30:31], v[10:11], -v[12:13]
	v_add_f64 v[26:27], v[26:27], v[38:39]
	v_add_f64 v[38:39], v[24:25], -v[254:255]
	v_fma_f64 v[228:229], v[16:17], s[4:5], v[18:19]
	v_add_f64 v[18:19], v[24:25], v[28:29]
	v_fma_f64 v[36:37], v[16:17], s[4:5], v[36:37]
	v_add_f64 v[16:17], v[222:223], v[254:255]
	v_add_f64 v[38:39], v[38:39], v[45:46]
	v_add_f64 v[45:46], v[14:15], -v[12:13]
	v_fma_f64 v[18:19], v[18:19], -0.5, v[222:223]
	v_add_f64 v[16:17], v[16:17], v[24:25]
	v_add_f64 v[24:25], v[24:25], -v[28:29]
	v_fma_f64 v[20:21], v[22:23], s[14:15], v[18:19]
	v_fma_f64 v[18:19], v[22:23], s[16:17], v[18:19]
	v_add_f64 v[16:17], v[16:17], v[28:29]
	v_add_f64 v[28:29], v[8:9], -v[10:11]
	v_fma_f64 v[20:21], v[30:31], s[6:7], v[20:21]
	v_fma_f64 v[18:19], v[30:31], s[18:19], v[18:19]
	v_add_f64 v[16:17], v[16:17], v[32:33]
	v_add_f64 v[28:29], v[28:29], v[45:46]
	v_fma_f64 v[20:21], v[26:27], s[4:5], v[20:21]
	v_fma_f64 v[220:221], v[26:27], s[4:5], v[18:19]
	v_add_f64 v[18:19], v[254:255], v[32:33]
	v_add_f64 v[32:33], v[254:255], -v[32:33]
	v_fma_f64 v[18:19], v[18:19], -0.5, v[222:223]
	v_fma_f64 v[26:27], v[30:31], s[16:17], v[18:19]
	v_fma_f64 v[18:19], v[30:31], s[14:15], v[18:19]
	;; [unrolled: 1-line block ×4, first 2 shown]
	v_add_f64 v[22:23], v[10:11], v[12:13]
	v_fma_f64 v[26:27], v[38:39], s[4:5], v[26:27]
	v_fma_f64 v[30:31], v[38:39], s[4:5], v[18:19]
	v_fma_f64 v[38:39], v[22:23], -0.5, v[224:225]
	v_add_f64 v[18:19], v[224:225], v[8:9]
	v_fma_f64 v[22:23], v[32:33], s[16:17], v[38:39]
	v_fma_f64 v[38:39], v[32:33], s[14:15], v[38:39]
	v_add_f64 v[18:19], v[18:19], v[10:11]
	v_fma_f64 v[22:23], v[24:25], s[18:19], v[22:23]
	v_fma_f64 v[38:39], v[24:25], s[6:7], v[38:39]
	;; [unrolled: 3-line block ×3, first 2 shown]
	v_add_f64 v[28:29], v[8:9], v[14:15]
	v_add_f64 v[8:9], v[10:11], -v[8:9]
	v_add_f64 v[10:11], v[12:13], -v[14:15]
	v_add_f64 v[18:19], v[18:19], v[14:15]
	v_fma_f64 v[38:39], v[28:29], -0.5, v[224:225]
	v_add_f64 v[8:9], v[8:9], v[10:11]
	v_fma_f64 v[28:29], v[24:25], s[14:15], v[38:39]
	v_fma_f64 v[10:11], v[24:25], s[16:17], v[38:39]
	;; [unrolled: 1-line block ×4, first 2 shown]
	s_movk_i32 s6, 0x6000
	v_fma_f64 v[28:29], v[8:9], s[4:5], v[28:29]
	v_fma_f64 v[32:33], v[8:9], s[4:5], v[10:11]
	s_movk_i32 s4, 0x6900
	ds_write_b128 v42, v[234:237]
	ds_write_b128 v42, v[242:245] offset:5376
	ds_write_b128 v42, v[246:249] offset:10752
	ds_write_b128 v42, v[230:233] offset:16128
	ds_write_b128 v42, v[238:241] offset:21504
	ds_write_b128 v42, v[250:253] offset:1792
	ds_write_b128 v42, v[4:7] offset:7168
	ds_write_b128 v42, v[34:37] offset:12544
	ds_write_b128 v42, v[226:229] offset:17920
	ds_write_b128 v42, v[0:3] offset:23296
	ds_write_b128 v42, v[16:19] offset:3584
	ds_write_b128 v42, v[20:23] offset:8960
	ds_write_b128 v42, v[26:29] offset:14336
	ds_write_b128 v42, v[30:33] offset:19712
	ds_write_b128 v42, v[220:223] offset:25088
	v_add_co_u32_e32 v0, vcc, s4, v40
	v_addc_co_u32_e32 v1, vcc, 0, v47, vcc
	v_add_co_u32_e32 v6, vcc, s6, v40
	v_addc_co_u32_e32 v7, vcc, 0, v47, vcc
	s_waitcnt lgkmcnt(0)
	s_barrier
	global_load_dwordx4 v[6:9], v[6:7], off offset:2304
	ds_read_b128 v[2:5], v42
	s_mov_b32 s4, 0x9000
	v_add_co_u32_e32 v14, vcc, s4, v40
	v_addc_co_u32_e32 v15, vcc, 0, v47, vcc
	s_mov_b32 s4, 0xa000
	v_add_co_u32_e32 v16, vcc, s4, v40
	v_addc_co_u32_e32 v17, vcc, 0, v47, vcc
	s_movk_i32 s4, 0x7000
	s_waitcnt vmcnt(0) lgkmcnt(0)
	v_mul_f64 v[10:11], v[4:5], v[8:9]
	v_fma_f64 v[10:11], v[2:3], v[6:7], -v[10:11]
	v_mul_f64 v[2:3], v[2:3], v[8:9]
	v_fma_f64 v[12:13], v[4:5], v[6:7], v[2:3]
	global_load_dwordx4 v[6:9], v[14:15], off offset:3456
	ds_read_b128 v[2:5], v42 offset:13440
	ds_write_b128 v42, v[10:13]
	s_waitcnt vmcnt(0) lgkmcnt(1)
	v_mul_f64 v[10:11], v[4:5], v[8:9]
	v_fma_f64 v[10:11], v[2:3], v[6:7], -v[10:11]
	v_mul_f64 v[2:3], v[2:3], v[8:9]
	v_fma_f64 v[12:13], v[4:5], v[6:7], v[2:3]
	global_load_dwordx4 v[6:9], v[0:1], off offset:1792
	ds_read_b128 v[2:5], v42 offset:1792
	ds_write_b128 v42, v[10:13] offset:13440
	s_waitcnt vmcnt(0) lgkmcnt(1)
	v_mul_f64 v[10:11], v[4:5], v[8:9]
	v_fma_f64 v[10:11], v[2:3], v[6:7], -v[10:11]
	v_mul_f64 v[2:3], v[2:3], v[8:9]
	v_fma_f64 v[12:13], v[4:5], v[6:7], v[2:3]
	global_load_dwordx4 v[6:9], v[16:17], off offset:1152
	ds_read_b128 v[2:5], v42 offset:15232
	ds_write_b128 v42, v[10:13] offset:1792
	;; [unrolled: 8-line block ×4, first 2 shown]
	s_waitcnt vmcnt(0) lgkmcnt(1)
	v_mul_f64 v[10:11], v[4:5], v[8:9]
	v_fma_f64 v[10:11], v[2:3], v[6:7], -v[10:11]
	v_mul_f64 v[2:3], v[2:3], v[8:9]
	v_fma_f64 v[12:13], v[4:5], v[6:7], v[2:3]
	v_add_co_u32_e32 v6, vcc, s4, v40
	v_addc_co_u32_e32 v7, vcc, 0, v47, vcc
	global_load_dwordx4 v[6:9], v[6:7], off offset:3584
	ds_read_b128 v[2:5], v42 offset:5376
	s_mov_b32 s4, 0xb000
	ds_write_b128 v42, v[10:13] offset:17024
	v_add_co_u32_e32 v16, vcc, s4, v40
	v_addc_co_u32_e32 v17, vcc, 0, v47, vcc
	s_mov_b32 s4, 0x8000
	v_add_co_u32_e32 v18, vcc, s4, v40
	v_addc_co_u32_e32 v19, vcc, 0, v47, vcc
	s_mov_b32 s4, 0xc000
	s_waitcnt vmcnt(0) lgkmcnt(1)
	v_mul_f64 v[10:11], v[4:5], v[8:9]
	v_fma_f64 v[10:11], v[2:3], v[6:7], -v[10:11]
	v_mul_f64 v[2:3], v[2:3], v[8:9]
	v_fma_f64 v[12:13], v[4:5], v[6:7], v[2:3]
	global_load_dwordx4 v[6:9], v[16:17], off offset:640
	ds_read_b128 v[2:5], v42 offset:18816
	ds_write_b128 v42, v[10:13] offset:5376
	s_waitcnt vmcnt(0) lgkmcnt(1)
	v_mul_f64 v[10:11], v[4:5], v[8:9]
	v_fma_f64 v[10:11], v[2:3], v[6:7], -v[10:11]
	v_mul_f64 v[2:3], v[2:3], v[8:9]
	v_fma_f64 v[12:13], v[4:5], v[6:7], v[2:3]
	global_load_dwordx4 v[6:9], v[18:19], off offset:1280
	ds_read_b128 v[2:5], v42 offset:7168
	ds_write_b128 v42, v[10:13] offset:18816
	s_waitcnt vmcnt(0) lgkmcnt(1)
	v_mul_f64 v[10:11], v[4:5], v[8:9]
	v_fma_f64 v[10:11], v[2:3], v[6:7], -v[10:11]
	v_mul_f64 v[2:3], v[2:3], v[8:9]
	v_fma_f64 v[12:13], v[4:5], v[6:7], v[2:3]
	global_load_dwordx4 v[6:9], v[16:17], off offset:2432
	ds_read_b128 v[2:5], v42 offset:20608
	v_add_co_u32_e32 v16, vcc, s4, v40
	v_addc_co_u32_e32 v17, vcc, 0, v47, vcc
	ds_write_b128 v42, v[10:13] offset:7168
	s_waitcnt vmcnt(0) lgkmcnt(1)
	v_mul_f64 v[10:11], v[4:5], v[8:9]
	v_fma_f64 v[10:11], v[2:3], v[6:7], -v[10:11]
	v_mul_f64 v[2:3], v[2:3], v[8:9]
	v_fma_f64 v[12:13], v[4:5], v[6:7], v[2:3]
	global_load_dwordx4 v[6:9], v[18:19], off offset:3072
	ds_read_b128 v[2:5], v42 offset:8960
	ds_write_b128 v42, v[10:13] offset:20608
	s_waitcnt vmcnt(0) lgkmcnt(1)
	v_mul_f64 v[10:11], v[4:5], v[8:9]
	v_fma_f64 v[10:11], v[2:3], v[6:7], -v[10:11]
	v_mul_f64 v[2:3], v[2:3], v[8:9]
	v_fma_f64 v[12:13], v[4:5], v[6:7], v[2:3]
	global_load_dwordx4 v[6:9], v[16:17], off offset:128
	ds_read_b128 v[2:5], v42 offset:22400
	;; [unrolled: 8-line block ×4, first 2 shown]
	ds_write_b128 v42, v[10:13] offset:10752
	s_waitcnt vmcnt(0) lgkmcnt(1)
	v_mul_f64 v[10:11], v[4:5], v[8:9]
	v_fma_f64 v[10:11], v[2:3], v[6:7], -v[10:11]
	v_mul_f64 v[2:3], v[2:3], v[8:9]
	v_fma_f64 v[12:13], v[4:5], v[6:7], v[2:3]
	ds_write_b128 v42, v[10:13] offset:24192
	s_and_saveexec_b64 s[4:5], s[0:1]
	s_cbranch_execz .LBB0_25
; %bb.24:
	v_add_co_u32_e32 v6, vcc, 0x3000, v0
	v_addc_co_u32_e32 v7, vcc, 0, v1, vcc
	global_load_dwordx4 v[6:9], v[6:7], off offset:256
	ds_read_b128 v[2:5], v42 offset:12544
	v_add_co_u32_e32 v0, vcc, s6, v0
	v_addc_co_u32_e32 v1, vcc, 0, v1, vcc
	s_waitcnt vmcnt(0) lgkmcnt(0)
	v_mul_f64 v[10:11], v[4:5], v[8:9]
	v_fma_f64 v[10:11], v[2:3], v[6:7], -v[10:11]
	v_mul_f64 v[2:3], v[2:3], v[8:9]
	v_fma_f64 v[12:13], v[4:5], v[6:7], v[2:3]
	global_load_dwordx4 v[6:9], v[0:1], off offset:1408
	ds_read_b128 v[2:5], v42 offset:25984
	ds_write_b128 v42, v[10:13] offset:12544
	s_waitcnt vmcnt(0) lgkmcnt(1)
	v_mul_f64 v[0:1], v[4:5], v[8:9]
	v_fma_f64 v[0:1], v[2:3], v[6:7], -v[0:1]
	v_mul_f64 v[2:3], v[2:3], v[8:9]
	v_fma_f64 v[2:3], v[4:5], v[6:7], v[2:3]
	ds_write_b128 v42, v[0:3] offset:25984
.LBB0_25:
	s_or_b64 exec, exec, s[4:5]
	s_waitcnt lgkmcnt(0)
	s_barrier
	ds_read_b128 v[244:247], v42
	ds_read_b128 v[248:251], v42 offset:1792
	ds_read_b128 v[16:19], v42 offset:15232
	;; [unrolled: 1-line block ×13, first 2 shown]
	s_and_saveexec_b64 s[4:5], s[0:1]
	s_cbranch_execz .LBB0_27
; %bb.26:
	ds_read_b128 v[220:223], v42 offset:12544
	ds_read_b128 v[216:219], v42 offset:25984
.LBB0_27:
	s_or_b64 exec, exec, s[4:5]
	s_waitcnt lgkmcnt(3)
	v_add_f64 v[20:21], v[244:245], -v[20:21]
	v_add_f64 v[22:23], v[246:247], -v[22:23]
	v_lshlrev_b32_e32 v45, 5, v43
	s_waitcnt lgkmcnt(0)
	s_barrier
	v_add_f64 v[16:17], v[248:249], -v[16:17]
	v_add_f64 v[18:19], v[250:251], -v[18:19]
	v_fma_f64 v[24:25], v[244:245], 2.0, -v[20:21]
	v_fma_f64 v[26:27], v[246:247], 2.0, -v[22:23]
	v_add_f64 v[12:13], v[252:253], -v[12:13]
	v_add_f64 v[14:15], v[254:255], -v[14:15]
	;; [unrolled: 1-line block ×4, first 2 shown]
	v_fma_f64 v[28:29], v[248:249], 2.0, -v[16:17]
	v_fma_f64 v[30:31], v[250:251], 2.0, -v[18:19]
	ds_write_b128 v45, v[24:27]
	ds_write_b128 v45, v[20:23] offset:16
	buffer_load_dword v20, off, s[40:43], 0 offset:272 ; 4-byte Folded Reload
	v_fma_f64 v[32:33], v[252:253], 2.0, -v[12:13]
	v_fma_f64 v[34:35], v[254:255], 2.0, -v[14:15]
	;; [unrolled: 1-line block ×4, first 2 shown]
	v_add_f64 v[236:237], v[224:225], -v[236:237]
	v_add_f64 v[238:239], v[226:227], -v[238:239]
	;; [unrolled: 1-line block ×8, first 2 shown]
	v_fma_f64 v[216:217], v[224:225], 2.0, -v[236:237]
	v_fma_f64 v[218:219], v[226:227], 2.0, -v[238:239]
	;; [unrolled: 1-line block ×4, first 2 shown]
	s_waitcnt vmcnt(0)
	ds_write_b128 v20, v[28:31]
	ds_write_b128 v20, v[16:19] offset:16
	buffer_load_dword v16, off, s[40:43], 0 offset:276 ; 4-byte Folded Reload
	v_fma_f64 v[224:225], v[0:1], 2.0, -v[232:233]
	v_fma_f64 v[226:227], v[2:3], 2.0, -v[234:235]
	;; [unrolled: 1-line block ×4, first 2 shown]
	s_waitcnt vmcnt(0)
	ds_write_b128 v16, v[32:35]
	ds_write_b128 v16, v[12:15] offset:16
	buffer_load_dword v12, off, s[40:43], 0 offset:284 ; 4-byte Folded Reload
	s_waitcnt vmcnt(0)
	ds_write_b128 v12, v[36:39]
	ds_write_b128 v12, v[8:11] offset:16
	buffer_load_dword v8, off, s[40:43], 0 offset:288 ; 4-byte Folded Reload
	;; [unrolled: 4-line block ×4, first 2 shown]
	s_waitcnt vmcnt(0)
	ds_write_b128 v8, v[228:231]
	ds_write_b128 v8, v[240:243] offset:16
	s_and_saveexec_b64 s[4:5], s[0:1]
	s_cbranch_execz .LBB0_29
; %bb.28:
	buffer_load_dword v8, off, s[40:43], 0 offset:340 ; 4-byte Folded Reload
	s_waitcnt vmcnt(0)
	ds_write_b128 v8, v[0:3]
	ds_write_b128 v8, v[4:7] offset:16
.LBB0_29:
	s_or_b64 exec, exec, s[4:5]
	s_waitcnt lgkmcnt(0)
	s_barrier
	ds_read_b128 v[240:243], v42
	ds_read_b128 v[236:239], v42 offset:1792
	ds_read_b128 v[16:19], v42 offset:15232
	ds_read_b128 v[12:15], v42 offset:17024
	ds_read_b128 v[232:235], v42 offset:3584
	ds_read_b128 v[228:231], v42 offset:5376
	ds_read_b128 v[8:11], v42 offset:18816
	ds_read_b128 v[252:255], v42 offset:20608
	ds_read_b128 v[224:227], v42 offset:7168
	ds_read_b128 v[220:223], v42 offset:8960
	ds_read_b128 v[20:23], v42 offset:13440
	ds_read_b128 v[216:219], v42 offset:10752
	ds_read_b128 v[248:251], v42 offset:22400
	ds_read_b128 v[244:247], v42 offset:24192
	s_and_saveexec_b64 s[4:5], s[0:1]
	s_cbranch_execz .LBB0_31
; %bb.30:
	ds_read_b128 v[0:3], v42 offset:12544
	ds_read_b128 v[4:7], v42 offset:25984
.LBB0_31:
	s_or_b64 exec, exec, s[4:5]
	s_waitcnt lgkmcnt(3)
	v_mul_f64 v[24:25], v[130:131], v[22:23]
	s_waitcnt lgkmcnt(0)
	s_barrier
	v_fma_f64 v[24:25], v[128:129], v[20:21], v[24:25]
	v_mul_f64 v[20:21], v[130:131], v[20:21]
	v_fma_f64 v[20:21], v[128:129], v[22:23], -v[20:21]
	v_mul_f64 v[22:23], v[130:131], v[18:19]
	v_fma_f64 v[22:23], v[128:129], v[16:17], v[22:23]
	v_mul_f64 v[16:17], v[130:131], v[16:17]
	v_fma_f64 v[18:19], v[128:129], v[18:19], -v[16:17]
	v_mul_f64 v[16:17], v[130:131], v[14:15]
	v_add_f64 v[18:19], v[238:239], -v[18:19]
	v_fma_f64 v[26:27], v[128:129], v[12:13], v[16:17]
	v_mul_f64 v[12:13], v[130:131], v[12:13]
	v_add_f64 v[16:17], v[236:237], -v[22:23]
	v_fma_f64 v[22:23], v[238:239], 2.0, -v[18:19]
	v_fma_f64 v[28:29], v[128:129], v[14:15], -v[12:13]
	v_mul_f64 v[12:13], v[130:131], v[10:11]
	v_fma_f64 v[32:33], v[128:129], v[8:9], v[12:13]
	v_mul_f64 v[8:9], v[130:131], v[8:9]
	v_add_f64 v[32:33], v[228:229], -v[32:33]
	v_fma_f64 v[34:35], v[128:129], v[10:11], -v[8:9]
	v_mul_f64 v[8:9], v[130:131], v[254:255]
	v_add_f64 v[10:11], v[242:243], -v[20:21]
	v_fma_f64 v[20:21], v[236:237], 2.0, -v[16:17]
	v_fma_f64 v[36:37], v[228:229], 2.0, -v[32:33]
	v_add_f64 v[34:35], v[230:231], -v[34:35]
	v_fma_f64 v[45:46], v[128:129], v[252:253], v[8:9]
	v_mul_f64 v[8:9], v[130:131], v[252:253]
	v_fma_f64 v[14:15], v[242:243], 2.0, -v[10:11]
	v_fma_f64 v[38:39], v[230:231], 2.0, -v[34:35]
	v_fma_f64 v[252:253], v[128:129], v[254:255], -v[8:9]
	v_mul_f64 v[8:9], v[130:131], v[250:251]
	v_fma_f64 v[254:255], v[128:129], v[248:249], v[8:9]
	v_mul_f64 v[8:9], v[130:131], v[248:249]
	v_add_f64 v[228:229], v[220:221], -v[254:255]
	v_fma_f64 v[248:249], v[128:129], v[250:251], -v[8:9]
	v_mul_f64 v[8:9], v[130:131], v[246:247]
	v_fma_f64 v[220:221], v[220:221], 2.0, -v[228:229]
	v_add_f64 v[230:231], v[222:223], -v[248:249]
	v_fma_f64 v[250:251], v[128:129], v[244:245], v[8:9]
	v_mul_f64 v[8:9], v[130:131], v[244:245]
	v_fma_f64 v[222:223], v[222:223], 2.0, -v[230:231]
	v_fma_f64 v[244:245], v[128:129], v[246:247], -v[8:9]
	v_mul_f64 v[8:9], v[130:131], v[6:7]
	v_fma_f64 v[246:247], v[128:129], v[4:5], v[8:9]
	v_mul_f64 v[4:5], v[130:131], v[4:5]
	v_add_f64 v[8:9], v[240:241], -v[24:25]
	v_add_f64 v[24:25], v[232:233], -v[26:27]
	;; [unrolled: 1-line block ×4, first 2 shown]
	v_fma_f64 v[6:7], v[128:129], v[6:7], -v[4:5]
	v_add_f64 v[128:129], v[224:225], -v[45:46]
	buffer_load_dword v45, off, s[40:43], 0 offset:296 ; 4-byte Folded Reload
	v_fma_f64 v[12:13], v[240:241], 2.0, -v[8:9]
	v_fma_f64 v[28:29], v[232:233], 2.0, -v[24:25]
	;; [unrolled: 1-line block ×4, first 2 shown]
	v_add_f64 v[232:233], v[216:217], -v[250:251]
	v_add_f64 v[234:235], v[218:219], -v[244:245]
	v_fma_f64 v[224:225], v[224:225], 2.0, -v[128:129]
	v_add_f64 v[4:5], v[0:1], -v[246:247]
	v_add_f64 v[6:7], v[2:3], -v[6:7]
	s_waitcnt vmcnt(0)
	ds_write_b128 v45, v[12:15]
	ds_write_b128 v45, v[8:11] offset:32
	buffer_load_dword v8, off, s[40:43], 0 offset:268 ; 4-byte Folded Reload
	v_fma_f64 v[216:217], v[216:217], 2.0, -v[232:233]
	v_fma_f64 v[218:219], v[218:219], 2.0, -v[234:235]
	;; [unrolled: 1-line block ×4, first 2 shown]
	s_waitcnt vmcnt(0)
	ds_write_b128 v8, v[20:23]
	ds_write_b128 v8, v[16:19] offset:32
	buffer_load_dword v8, off, s[40:43], 0 offset:256 ; 4-byte Folded Reload
	s_waitcnt vmcnt(0)
	ds_write_b128 v8, v[28:31]
	ds_write_b128 v8, v[24:27] offset:32
	buffer_load_dword v8, off, s[40:43], 0 offset:248 ; 4-byte Folded Reload
	;; [unrolled: 4-line block ×5, first 2 shown]
	s_waitcnt vmcnt(0)
	ds_write_b128 v8, v[216:219]
	ds_write_b128 v8, v[232:235] offset:32
	s_and_saveexec_b64 s[4:5], s[0:1]
	s_cbranch_execz .LBB0_33
; %bb.32:
	buffer_load_dword v8, off, s[40:43], 0  ; 4-byte Folded Reload
	s_movk_i32 s6, 0x6fc
	v_and_b32_e32 v9, 1, v43
	s_waitcnt vmcnt(0)
	v_and_or_b32 v8, v8, s6, v9
	v_lshlrev_b32_e32 v8, 4, v8
	ds_write_b128 v8, v[0:3]
	ds_write_b128 v8, v[4:7] offset:32
.LBB0_33:
	s_or_b64 exec, exec, s[4:5]
	s_waitcnt lgkmcnt(0)
	s_barrier
	ds_read_b128 v[236:239], v42
	ds_read_b128 v[232:235], v42 offset:1792
	ds_read_b128 v[16:19], v42 offset:15232
	;; [unrolled: 1-line block ×13, first 2 shown]
	s_and_saveexec_b64 s[4:5], s[0:1]
	s_cbranch_execz .LBB0_35
; %bb.34:
	ds_read_b128 v[0:3], v42 offset:12544
	ds_read_b128 v[4:7], v42 offset:25984
.LBB0_35:
	s_or_b64 exec, exec, s[4:5]
	s_waitcnt lgkmcnt(3)
	v_mul_f64 v[24:25], v[134:135], v[22:23]
	s_waitcnt lgkmcnt(0)
	s_barrier
	v_fma_f64 v[24:25], v[132:133], v[20:21], v[24:25]
	v_mul_f64 v[20:21], v[134:135], v[20:21]
	v_fma_f64 v[20:21], v[132:133], v[22:23], -v[20:21]
	v_mul_f64 v[22:23], v[134:135], v[18:19]
	v_fma_f64 v[22:23], v[132:133], v[16:17], v[22:23]
	v_mul_f64 v[16:17], v[134:135], v[16:17]
	v_fma_f64 v[18:19], v[132:133], v[18:19], -v[16:17]
	v_mul_f64 v[16:17], v[134:135], v[14:15]
	v_add_f64 v[18:19], v[234:235], -v[18:19]
	v_fma_f64 v[26:27], v[132:133], v[12:13], v[16:17]
	v_mul_f64 v[12:13], v[134:135], v[12:13]
	v_add_f64 v[16:17], v[232:233], -v[22:23]
	v_fma_f64 v[22:23], v[234:235], 2.0, -v[18:19]
	v_fma_f64 v[28:29], v[132:133], v[14:15], -v[12:13]
	v_mul_f64 v[12:13], v[134:135], v[10:11]
	v_fma_f64 v[32:33], v[132:133], v[8:9], v[12:13]
	v_mul_f64 v[8:9], v[134:135], v[8:9]
	v_add_f64 v[32:33], v[224:225], -v[32:33]
	v_fma_f64 v[34:35], v[132:133], v[10:11], -v[8:9]
	v_mul_f64 v[8:9], v[134:135], v[250:251]
	v_add_f64 v[10:11], v[238:239], -v[20:21]
	v_fma_f64 v[20:21], v[232:233], 2.0, -v[16:17]
	v_fma_f64 v[36:37], v[224:225], 2.0, -v[32:33]
	v_add_f64 v[34:35], v[226:227], -v[34:35]
	v_fma_f64 v[45:46], v[132:133], v[248:249], v[8:9]
	v_mul_f64 v[8:9], v[134:135], v[248:249]
	v_fma_f64 v[14:15], v[238:239], 2.0, -v[10:11]
	v_fma_f64 v[38:39], v[226:227], 2.0, -v[34:35]
	v_add_f64 v[224:225], v[220:221], -v[45:46]
	v_fma_f64 v[248:249], v[132:133], v[250:251], -v[8:9]
	v_mul_f64 v[8:9], v[134:135], v[246:247]
	v_fma_f64 v[220:221], v[220:221], 2.0, -v[224:225]
	v_add_f64 v[226:227], v[222:223], -v[248:249]
	v_fma_f64 v[250:251], v[132:133], v[244:245], v[8:9]
	v_mul_f64 v[8:9], v[134:135], v[244:245]
	v_fma_f64 v[222:223], v[222:223], 2.0, -v[226:227]
	v_fma_f64 v[244:245], v[132:133], v[246:247], -v[8:9]
	v_mul_f64 v[8:9], v[134:135], v[242:243]
	v_fma_f64 v[246:247], v[132:133], v[240:241], v[8:9]
	v_mul_f64 v[8:9], v[134:135], v[240:241]
	v_add_f64 v[232:233], v[128:129], -v[246:247]
	v_fma_f64 v[240:241], v[132:133], v[242:243], -v[8:9]
	v_mul_f64 v[8:9], v[134:135], v[6:7]
	v_fma_f64 v[128:129], v[128:129], 2.0, -v[232:233]
	v_add_f64 v[234:235], v[130:131], -v[240:241]
	v_fma_f64 v[242:243], v[132:133], v[4:5], v[8:9]
	v_mul_f64 v[4:5], v[134:135], v[4:5]
	v_add_f64 v[8:9], v[236:237], -v[24:25]
	v_add_f64 v[24:25], v[228:229], -v[26:27]
	;; [unrolled: 1-line block ×3, first 2 shown]
	v_fma_f64 v[130:131], v[130:131], 2.0, -v[234:235]
	v_fma_f64 v[6:7], v[132:133], v[6:7], -v[4:5]
	v_add_f64 v[4:5], v[0:1], -v[242:243]
	v_fma_f64 v[12:13], v[236:237], 2.0, -v[8:9]
	v_fma_f64 v[28:29], v[228:229], 2.0, -v[24:25]
	;; [unrolled: 1-line block ×3, first 2 shown]
	v_add_f64 v[228:229], v[216:217], -v[250:251]
	v_add_f64 v[230:231], v[218:219], -v[244:245]
	;; [unrolled: 1-line block ×3, first 2 shown]
	v_fma_f64 v[132:133], v[0:1], 2.0, -v[4:5]
	buffer_load_dword v0, off, s[40:43], 0 offset:320 ; 4-byte Folded Reload
	s_waitcnt vmcnt(0)
	ds_write_b128 v0, v[12:15]
	ds_write_b128 v0, v[8:11] offset:64
	buffer_load_dword v0, off, s[40:43], 0 offset:312 ; 4-byte Folded Reload
	v_fma_f64 v[216:217], v[216:217], 2.0, -v[228:229]
	v_fma_f64 v[218:219], v[218:219], 2.0, -v[230:231]
	;; [unrolled: 1-line block ×3, first 2 shown]
	s_waitcnt vmcnt(0)
	ds_write_b128 v0, v[20:23]
	ds_write_b128 v0, v[16:19] offset:64
	buffer_load_dword v0, off, s[40:43], 0 offset:292 ; 4-byte Folded Reload
	s_waitcnt vmcnt(0)
	ds_write_b128 v0, v[28:31]
	ds_write_b128 v0, v[24:27] offset:64
	buffer_load_dword v0, off, s[40:43], 0 offset:264 ; 4-byte Folded Reload
	;; [unrolled: 4-line block ×5, first 2 shown]
	s_waitcnt vmcnt(0)
	ds_write_b128 v0, v[128:131]
	ds_write_b128 v0, v[232:235] offset:64
	s_and_saveexec_b64 s[4:5], s[0:1]
	s_cbranch_execz .LBB0_37
; %bb.36:
	buffer_load_dword v0, off, s[40:43], 0  ; 4-byte Folded Reload
	s_movk_i32 s6, 0x6f8
	v_and_b32_e32 v1, 3, v43
	s_waitcnt vmcnt(0)
	v_and_or_b32 v0, v0, s6, v1
	v_lshlrev_b32_e32 v0, 4, v0
	ds_write_b128 v0, v[132:135]
	ds_write_b128 v0, v[4:7] offset:64
.LBB0_37:
	s_or_b64 exec, exec, s[4:5]
	s_waitcnt lgkmcnt(0)
	s_barrier
	ds_read_b128 v[232:235], v42
	ds_read_b128 v[228:231], v42 offset:1792
	ds_read_b128 v[12:15], v42 offset:15232
	;; [unrolled: 1-line block ×13, first 2 shown]
	s_and_saveexec_b64 s[4:5], s[0:1]
	s_cbranch_execz .LBB0_39
; %bb.38:
	ds_read_b128 v[132:135], v42 offset:12544
	ds_read_b128 v[4:7], v42 offset:25984
.LBB0_39:
	s_or_b64 exec, exec, s[4:5]
	s_waitcnt lgkmcnt(3)
	v_mul_f64 v[20:21], v[146:147], v[18:19]
	s_waitcnt lgkmcnt(0)
	s_barrier
	v_fma_f64 v[20:21], v[144:145], v[16:17], v[20:21]
	v_mul_f64 v[16:17], v[146:147], v[16:17]
	v_fma_f64 v[16:17], v[144:145], v[18:19], -v[16:17]
	v_mul_f64 v[18:19], v[146:147], v[14:15]
	v_fma_f64 v[18:19], v[144:145], v[12:13], v[18:19]
	v_mul_f64 v[12:13], v[146:147], v[12:13]
	v_fma_f64 v[14:15], v[144:145], v[14:15], -v[12:13]
	v_mul_f64 v[12:13], v[146:147], v[250:251]
	v_add_f64 v[14:15], v[230:231], -v[14:15]
	v_fma_f64 v[22:23], v[144:145], v[248:249], v[12:13]
	v_mul_f64 v[12:13], v[146:147], v[248:249]
	v_fma_f64 v[24:25], v[144:145], v[250:251], -v[12:13]
	v_mul_f64 v[12:13], v[146:147], v[246:247]
	v_fma_f64 v[28:29], v[144:145], v[244:245], v[12:13]
	v_mul_f64 v[12:13], v[146:147], v[244:245]
	v_add_f64 v[28:29], v[220:221], -v[28:29]
	v_fma_f64 v[30:31], v[144:145], v[246:247], -v[12:13]
	v_mul_f64 v[12:13], v[146:147], v[10:11]
	v_fma_f64 v[32:33], v[220:221], 2.0, -v[28:29]
	v_add_f64 v[30:31], v[222:223], -v[30:31]
	v_fma_f64 v[36:37], v[144:145], v[8:9], v[12:13]
	v_mul_f64 v[8:9], v[146:147], v[8:9]
	v_add_f64 v[12:13], v[228:229], -v[18:19]
	v_fma_f64 v[18:19], v[230:231], 2.0, -v[14:15]
	v_fma_f64 v[34:35], v[222:223], 2.0, -v[30:31]
	v_add_f64 v[36:37], v[216:217], -v[36:37]
	v_fma_f64 v[38:39], v[144:145], v[10:11], -v[8:9]
	v_mul_f64 v[8:9], v[146:147], v[242:243]
	v_add_f64 v[38:39], v[218:219], -v[38:39]
	v_fma_f64 v[45:46], v[144:145], v[240:241], v[8:9]
	v_mul_f64 v[8:9], v[146:147], v[240:241]
	v_fma_f64 v[240:241], v[144:145], v[242:243], -v[8:9]
	v_mul_f64 v[8:9], v[146:147], v[238:239]
	v_fma_f64 v[242:243], v[144:145], v[236:237], v[8:9]
	v_mul_f64 v[8:9], v[146:147], v[236:237]
	v_fma_f64 v[236:237], v[144:145], v[238:239], -v[8:9]
	v_mul_f64 v[8:9], v[146:147], v[6:7]
	v_fma_f64 v[238:239], v[144:145], v[4:5], v[8:9]
	v_mul_f64 v[4:5], v[146:147], v[4:5]
	v_fma_f64 v[146:147], v[218:219], 2.0, -v[38:39]
	v_add_f64 v[218:219], v[130:131], -v[240:241]
	v_fma_f64 v[244:245], v[144:145], v[6:7], -v[4:5]
	v_fma_f64 v[144:145], v[216:217], 2.0, -v[36:37]
	v_add_f64 v[216:217], v[128:129], -v[45:46]
	buffer_load_dword v45, off, s[40:43], 0 offset:332 ; 4-byte Folded Reload
	v_add_f64 v[4:5], v[232:233], -v[20:21]
	v_add_f64 v[6:7], v[234:235], -v[16:17]
	v_fma_f64 v[16:17], v[228:229], 2.0, -v[12:13]
	v_add_f64 v[20:21], v[224:225], -v[22:23]
	v_add_f64 v[22:23], v[226:227], -v[24:25]
	v_fma_f64 v[222:223], v[130:131], 2.0, -v[218:219]
	v_fma_f64 v[220:221], v[128:129], 2.0, -v[216:217]
	v_add_f64 v[128:129], v[132:133], -v[238:239]
	v_fma_f64 v[8:9], v[232:233], 2.0, -v[4:5]
	v_fma_f64 v[10:11], v[234:235], 2.0, -v[6:7]
	;; [unrolled: 3-line block ×3, first 2 shown]
	v_add_f64 v[224:225], v[0:1], -v[242:243]
	v_add_f64 v[226:227], v[2:3], -v[236:237]
	s_waitcnt vmcnt(0)
	ds_write_b128 v45, v[8:11]
	ds_write_b128 v45, v[4:7] offset:128
	buffer_load_dword v4, off, s[40:43], 0 offset:328 ; 4-byte Folded Reload
	v_fma_f64 v[0:1], v[0:1], 2.0, -v[224:225]
	v_fma_f64 v[2:3], v[2:3], 2.0, -v[226:227]
	s_waitcnt vmcnt(0)
	ds_write_b128 v4, v[16:19]
	ds_write_b128 v4, v[12:15] offset:128
	buffer_load_dword v4, off, s[40:43], 0 offset:324 ; 4-byte Folded Reload
	s_waitcnt vmcnt(0)
	ds_write_b128 v4, v[24:27]
	ds_write_b128 v4, v[20:23] offset:128
	buffer_load_dword v4, off, s[40:43], 0 offset:316 ; 4-byte Folded Reload
	;; [unrolled: 4-line block ×5, first 2 shown]
	s_waitcnt vmcnt(0)
	ds_write_b128 v4, v[0:3]
	ds_write_b128 v4, v[224:227] offset:128
	s_and_saveexec_b64 s[4:5], s[0:1]
	s_cbranch_execz .LBB0_41
; %bb.40:
	buffer_load_dword v4, off, s[40:43], 0  ; 4-byte Folded Reload
	v_fma_f64 v[2:3], v[134:135], 2.0, -v[130:131]
	v_fma_f64 v[0:1], v[132:133], 2.0, -v[128:129]
	s_movk_i32 s6, 0x6f0
	v_and_b32_e32 v5, 7, v43
	s_waitcnt vmcnt(0)
	v_and_or_b32 v4, v4, s6, v5
	v_lshlrev_b32_e32 v4, 4, v4
	ds_write_b128 v4, v[0:3]
	ds_write_b128 v4, v[128:131] offset:128
.LBB0_41:
	s_or_b64 exec, exec, s[4:5]
	s_waitcnt lgkmcnt(0)
	s_barrier
	ds_read_b128 v[0:3], v42
	ds_read_b128 v[4:7], v42 offset:8960
	ds_read_b128 v[8:11], v42 offset:17920
	;; [unrolled: 1-line block ×14, first 2 shown]
	s_waitcnt lgkmcnt(13)
	v_mul_f64 v[45:46], v[142:143], v[6:7]
	s_mov_b32 s4, 0xe8584caa
	s_mov_b32 s5, 0xbfebb67a
	;; [unrolled: 1-line block ×4, first 2 shown]
	s_waitcnt lgkmcnt(0)
	s_barrier
	v_fma_f64 v[45:46], v[140:141], v[4:5], v[45:46]
	v_mul_f64 v[4:5], v[142:143], v[4:5]
	v_fma_f64 v[228:229], v[140:141], v[6:7], -v[4:5]
	v_mul_f64 v[4:5], v[138:139], v[10:11]
	v_fma_f64 v[230:231], v[136:137], v[8:9], v[4:5]
	v_mul_f64 v[4:5], v[138:139], v[8:9]
	v_add_f64 v[6:7], v[45:46], v[230:231]
	v_fma_f64 v[10:11], v[136:137], v[10:11], -v[4:5]
	v_mul_f64 v[4:5], v[142:143], v[18:19]
	v_fma_f64 v[6:7], v[6:7], -0.5, v[0:1]
	v_add_f64 v[8:9], v[228:229], -v[10:11]
	v_fma_f64 v[232:233], v[140:141], v[16:17], v[4:5]
	v_mul_f64 v[4:5], v[142:143], v[16:17]
	v_add_f64 v[16:17], v[45:46], -v[230:231]
	v_fma_f64 v[234:235], v[140:141], v[18:19], -v[4:5]
	v_mul_f64 v[4:5], v[138:139], v[22:23]
	v_fma_f64 v[236:237], v[136:137], v[20:21], v[4:5]
	v_mul_f64 v[4:5], v[138:139], v[20:21]
	v_add_f64 v[18:19], v[232:233], v[236:237]
	v_fma_f64 v[22:23], v[136:137], v[22:23], -v[4:5]
	v_mul_f64 v[4:5], v[142:143], v[30:31]
	v_fma_f64 v[18:19], v[18:19], -0.5, v[12:13]
	v_add_f64 v[20:21], v[234:235], -v[22:23]
	v_fma_f64 v[238:239], v[140:141], v[28:29], v[4:5]
	v_mul_f64 v[4:5], v[142:143], v[28:29]
	v_add_f64 v[28:29], v[232:233], -v[236:237]
	v_fma_f64 v[240:241], v[140:141], v[30:31], -v[4:5]
	v_mul_f64 v[4:5], v[138:139], v[34:35]
	v_fma_f64 v[242:243], v[136:137], v[32:33], v[4:5]
	v_mul_f64 v[4:5], v[138:139], v[32:33]
	v_add_f64 v[30:31], v[238:239], v[242:243]
	v_fma_f64 v[34:35], v[136:137], v[34:35], -v[4:5]
	v_mul_f64 v[4:5], v[142:143], v[134:135]
	v_fma_f64 v[30:31], v[30:31], -0.5, v[24:25]
	v_add_f64 v[32:33], v[240:241], -v[34:35]
	v_fma_f64 v[244:245], v[140:141], v[132:133], v[4:5]
	v_mul_f64 v[4:5], v[142:143], v[132:133]
	v_fma_f64 v[132:133], v[140:141], v[134:135], -v[4:5]
	v_mul_f64 v[4:5], v[138:139], v[146:147]
	v_fma_f64 v[134:135], v[136:137], v[144:145], v[4:5]
	v_mul_f64 v[4:5], v[138:139], v[144:145]
	v_fma_f64 v[144:145], v[136:137], v[146:147], -v[4:5]
	v_mul_f64 v[4:5], v[142:143], v[222:223]
	;; [unrolled: 4-line block ×3, first 2 shown]
	v_fma_f64 v[222:223], v[136:137], v[224:225], v[4:5]
	v_mul_f64 v[4:5], v[138:139], v[224:225]
	v_add_f64 v[138:139], v[132:133], -v[144:145]
	v_fma_f64 v[224:225], v[136:137], v[226:227], -v[4:5]
	v_add_f64 v[4:5], v[0:1], v[45:46]
	v_fma_f64 v[0:1], v[8:9], s[4:5], v[6:7]
	v_fma_f64 v[8:9], v[8:9], s[6:7], v[6:7]
	v_add_f64 v[6:7], v[2:3], v[228:229]
	v_add_f64 v[45:46], v[238:239], -v[242:243]
	v_add_f64 v[4:5], v[4:5], v[230:231]
	v_add_f64 v[6:7], v[6:7], v[10:11]
	;; [unrolled: 1-line block ×3, first 2 shown]
	v_fma_f64 v[10:11], v[10:11], -0.5, v[2:3]
	v_fma_f64 v[2:3], v[16:17], s[6:7], v[10:11]
	v_fma_f64 v[10:11], v[16:17], s[4:5], v[10:11]
	v_add_f64 v[16:17], v[12:13], v[232:233]
	v_fma_f64 v[12:13], v[20:21], s[4:5], v[18:19]
	v_fma_f64 v[20:21], v[20:21], s[6:7], v[18:19]
	v_add_f64 v[18:19], v[14:15], v[234:235]
	v_add_f64 v[16:17], v[16:17], v[236:237]
	;; [unrolled: 1-line block ×4, first 2 shown]
	v_fma_f64 v[22:23], v[22:23], -0.5, v[14:15]
	v_fma_f64 v[14:15], v[28:29], s[6:7], v[22:23]
	v_fma_f64 v[22:23], v[28:29], s[4:5], v[22:23]
	v_add_f64 v[28:29], v[24:25], v[238:239]
	v_fma_f64 v[24:25], v[32:33], s[4:5], v[30:31]
	v_fma_f64 v[32:33], v[32:33], s[6:7], v[30:31]
	v_add_f64 v[30:31], v[26:27], v[240:241]
	v_add_f64 v[28:29], v[28:29], v[242:243]
	;; [unrolled: 1-line block ×4, first 2 shown]
	v_fma_f64 v[34:35], v[34:35], -0.5, v[26:27]
	v_fma_f64 v[26:27], v[45:46], s[6:7], v[34:35]
	v_fma_f64 v[34:35], v[45:46], s[4:5], v[34:35]
	v_add_f64 v[45:46], v[36:37], v[244:245]
	v_add_f64 v[136:137], v[45:46], v[134:135]
	;; [unrolled: 1-line block ×3, first 2 shown]
	v_fma_f64 v[45:46], v[45:46], -0.5, v[36:37]
	v_fma_f64 v[36:37], v[138:139], s[4:5], v[45:46]
	v_fma_f64 v[140:141], v[138:139], s[6:7], v[45:46]
	v_add_f64 v[45:46], v[38:39], v[132:133]
	v_add_f64 v[138:139], v[45:46], v[144:145]
	;; [unrolled: 1-line block ×3, first 2 shown]
	v_add_f64 v[132:133], v[244:245], -v[134:135]
	v_add_f64 v[134:135], v[246:247], -v[222:223]
	v_fma_f64 v[45:46], v[45:46], -0.5, v[38:39]
	v_fma_f64 v[38:39], v[132:133], s[6:7], v[45:46]
	v_fma_f64 v[142:143], v[132:133], s[4:5], v[45:46]
	v_add_f64 v[45:46], v[216:217], v[246:247]
	v_add_f64 v[132:133], v[220:221], -v[224:225]
	v_add_f64 v[144:145], v[45:46], v[222:223]
	v_add_f64 v[45:46], v[246:247], v[222:223]
	v_fma_f64 v[45:46], v[45:46], -0.5, v[216:217]
	v_fma_f64 v[216:217], v[132:133], s[4:5], v[45:46]
	v_fma_f64 v[132:133], v[132:133], s[6:7], v[45:46]
	v_add_f64 v[45:46], v[218:219], v[220:221]
	v_add_f64 v[146:147], v[45:46], v[224:225]
	;; [unrolled: 1-line block ×3, first 2 shown]
	v_fma_f64 v[45:46], v[45:46], -0.5, v[218:219]
	v_fma_f64 v[218:219], v[134:135], s[6:7], v[45:46]
	v_fma_f64 v[134:135], v[134:135], s[4:5], v[45:46]
	buffer_load_dword v45, off, s[40:43], 0 offset:208 ; 4-byte Folded Reload
	s_waitcnt vmcnt(0)
	ds_write_b128 v45, v[4:7]
	ds_write_b128 v45, v[0:3] offset:256
	ds_write_b128 v45, v[8:11] offset:512
	buffer_load_dword v0, off, s[40:43], 0 offset:212 ; 4-byte Folded Reload
	s_waitcnt vmcnt(0)
	ds_write_b128 v0, v[16:19]
	ds_write_b128 v0, v[12:15] offset:256
	ds_write_b128 v0, v[20:23] offset:512
	;; [unrolled: 5-line block ×5, first 2 shown]
	s_waitcnt lgkmcnt(0)
	s_barrier
	ds_read_b128 v[0:3], v42
	ds_read_b128 v[248:251], v42 offset:3840
	ds_read_b128 v[244:247], v42 offset:7680
	;; [unrolled: 1-line block ×13, first 2 shown]
	s_and_saveexec_b64 s[4:5], s[2:3]
	s_cbranch_execz .LBB0_43
; %bb.42:
	ds_read_b128 v[132:135], v42 offset:3584
	ds_read_b128 v[128:131], v42 offset:7424
	;; [unrolled: 1-line block ×7, first 2 shown]
.LBB0_43:
	s_or_b64 exec, exec, s[4:5]
	s_waitcnt lgkmcnt(3)
	v_mul_f64 v[45:46], v[94:95], v[218:219]
	v_mul_f64 v[94:95], v[94:95], v[216:217]
	;; [unrolled: 1-line block ×8, first 2 shown]
	v_fma_f64 v[45:46], v[92:93], v[216:217], v[45:46]
	v_fma_f64 v[92:93], v[92:93], v[218:219], -v[94:95]
	s_waitcnt lgkmcnt(2)
	v_mul_f64 v[94:95], v[90:91], v[146:147]
	v_mul_f64 v[90:91], v[90:91], v[144:145]
	;; [unrolled: 1-line block ×4, first 2 shown]
	v_fma_f64 v[8:9], v[124:125], v[248:249], v[8:9]
	v_fma_f64 v[10:11], v[124:125], v[250:251], -v[10:11]
	v_fma_f64 v[12:13], v[120:121], v[244:245], v[12:13]
	v_fma_f64 v[14:15], v[120:121], v[246:247], -v[14:15]
	;; [unrolled: 2-line block ×3, first 2 shown]
	s_waitcnt lgkmcnt(1)
	v_mul_f64 v[90:91], v[86:87], v[142:143]
	v_mul_f64 v[86:87], v[86:87], v[140:141]
	;; [unrolled: 1-line block ×6, first 2 shown]
	v_fma_f64 v[24:25], v[116:117], v[232:233], v[24:25]
	v_fma_f64 v[26:27], v[116:117], v[234:235], -v[26:27]
	v_fma_f64 v[90:91], v[84:85], v[140:141], v[90:91]
	v_fma_f64 v[84:85], v[84:85], v[142:143], -v[86:87]
	s_waitcnt lgkmcnt(0)
	v_mul_f64 v[86:87], v[82:83], v[6:7]
	v_fma_f64 v[28:29], v[108:109], v[228:229], v[28:29]
	v_fma_f64 v[30:31], v[108:109], v[230:231], -v[30:31]
	v_fma_f64 v[16:17], v[112:113], v[240:241], v[16:17]
	v_fma_f64 v[18:19], v[112:113], v[242:243], -v[18:19]
	;; [unrolled: 2-line block ×3, first 2 shown]
	v_mul_f64 v[32:33], v[106:107], v[226:227]
	v_fma_f64 v[86:87], v[80:81], v[4:5], v[86:87]
	v_mul_f64 v[4:5], v[82:83], v[4:5]
	v_mul_f64 v[34:35], v[106:107], v[224:225]
	;; [unrolled: 1-line block ×4, first 2 shown]
	s_mov_b32 s16, 0x37e14327
	s_mov_b32 s6, 0x36b3c0b5
	v_fma_f64 v[32:33], v[104:105], v[224:225], v[32:33]
	s_mov_b32 s18, 0xe976ee23
	v_fma_f64 v[80:81], v[80:81], v[6:7], -v[4:5]
	v_add_f64 v[4:5], v[8:9], v[28:29]
	v_add_f64 v[6:7], v[10:11], v[30:31]
	v_add_f64 v[8:9], v[8:9], -v[28:29]
	v_add_f64 v[10:11], v[10:11], -v[30:31]
	v_add_f64 v[28:29], v[12:13], v[24:25]
	v_add_f64 v[30:31], v[14:15], v[26:27]
	v_add_f64 v[12:13], v[12:13], -v[24:25]
	v_add_f64 v[14:15], v[14:15], -v[26:27]
	;; [unrolled: 4-line block ×3, first 2 shown]
	v_add_f64 v[20:21], v[28:29], v[4:5]
	v_add_f64 v[22:23], v[30:31], v[6:7]
	v_fma_f64 v[34:35], v[104:105], v[226:227], -v[34:35]
	v_fma_f64 v[36:37], v[96:97], v[220:221], v[36:37]
	v_fma_f64 v[38:39], v[96:97], v[222:223], -v[38:39]
	v_add_f64 v[82:83], v[28:29], -v[4:5]
	v_add_f64 v[96:97], v[30:31], -v[6:7]
	;; [unrolled: 1-line block ×6, first 2 shown]
	v_add_f64 v[98:99], v[16:17], v[12:13]
	v_add_f64 v[100:101], v[18:19], v[14:15]
	v_add_f64 v[102:103], v[16:17], -v[12:13]
	v_add_f64 v[104:105], v[18:19], -v[14:15]
	v_add_f64 v[20:21], v[24:25], v[20:21]
	v_add_f64 v[22:23], v[26:27], v[22:23]
	s_mov_b32 s17, 0x3fe948f6
	s_mov_b32 s7, 0x3fac98ee
	;; [unrolled: 1-line block ×3, first 2 shown]
	v_add_f64 v[16:17], v[8:9], -v[16:17]
	v_add_f64 v[18:19], v[10:11], -v[18:19]
	;; [unrolled: 1-line block ×4, first 2 shown]
	v_add_f64 v[8:9], v[98:99], v[8:9]
	v_add_f64 v[10:11], v[100:101], v[10:11]
	;; [unrolled: 1-line block ×4, first 2 shown]
	v_mul_f64 v[4:5], v[4:5], s[16:17]
	v_mul_f64 v[6:7], v[6:7], s[16:17]
	;; [unrolled: 1-line block ×6, first 2 shown]
	s_mov_b32 s4, 0x429ad128
	s_mov_b32 s26, 0xaaaaaaaa
	;; [unrolled: 1-line block ×10, first 2 shown]
	v_mul_f64 v[102:103], v[12:13], s[4:5]
	v_mul_f64 v[104:105], v[14:15], s[4:5]
	v_fma_f64 v[20:21], v[20:21], s[26:27], v[0:1]
	v_fma_f64 v[22:23], v[22:23], s[26:27], v[2:3]
	;; [unrolled: 1-line block ×4, first 2 shown]
	v_fma_f64 v[24:25], v[82:83], s[14:15], -v[24:25]
	v_fma_f64 v[26:27], v[96:97], s[14:15], -v[26:27]
	;; [unrolled: 1-line block ×4, first 2 shown]
	v_fma_f64 v[82:83], v[16:17], s[28:29], v[98:99]
	v_fma_f64 v[96:97], v[18:19], s[28:29], v[100:101]
	v_fma_f64 v[12:13], v[12:13], s[4:5], -v[98:99]
	v_fma_f64 v[14:15], v[14:15], s[4:5], -v[100:101]
	s_mov_b32 s22, 0x37c3f68c
	s_mov_b32 s25, 0x3fd5d0dc
	;; [unrolled: 1-line block ×4, first 2 shown]
	v_fma_f64 v[16:17], v[16:17], s[24:25], -v[102:103]
	v_fma_f64 v[18:19], v[18:19], s[24:25], -v[104:105]
	v_add_f64 v[28:29], v[28:29], v[20:21]
	v_add_f64 v[30:31], v[30:31], v[22:23]
	;; [unrolled: 1-line block ×4, first 2 shown]
	v_fma_f64 v[82:83], v[8:9], s[22:23], v[82:83]
	v_fma_f64 v[96:97], v[10:11], s[22:23], v[96:97]
	;; [unrolled: 1-line block ×4, first 2 shown]
	v_add_f64 v[20:21], v[4:5], v[20:21]
	v_add_f64 v[22:23], v[6:7], v[22:23]
	v_fma_f64 v[102:103], v[8:9], s[22:23], v[16:17]
	v_fma_f64 v[104:105], v[10:11], s[22:23], v[18:19]
	v_add_f64 v[6:7], v[30:31], -v[82:83]
	v_add_f64 v[4:5], v[96:97], v[28:29]
	v_add_f64 v[14:15], v[98:99], v[26:27]
	v_add_f64 v[12:13], v[24:25], -v[100:101]
	v_add_f64 v[16:17], v[100:101], v[24:25]
	v_add_f64 v[18:19], v[26:27], -v[98:99]
	v_add_f64 v[24:25], v[28:29], -v[96:97]
	v_add_f64 v[26:27], v[82:83], v[30:31]
	v_add_f64 v[28:29], v[32:33], v[86:87]
	;; [unrolled: 1-line block ×3, first 2 shown]
	v_add_f64 v[34:35], v[34:35], -v[80:81]
	v_add_f64 v[80:81], v[36:37], v[90:91]
	v_add_f64 v[82:83], v[38:39], v[84:85]
	v_add_f64 v[32:33], v[32:33], -v[86:87]
	v_add_f64 v[36:37], v[36:37], -v[90:91]
	;; [unrolled: 1-line block ×3, first 2 shown]
	v_add_f64 v[84:85], v[45:46], v[94:95]
	v_add_f64 v[86:87], v[92:93], v[88:89]
	v_add_f64 v[45:46], v[94:95], -v[45:46]
	v_add_f64 v[88:89], v[88:89], -v[92:93]
	v_add_f64 v[90:91], v[80:81], v[28:29]
	v_add_f64 v[92:93], v[82:83], v[30:31]
	;; [unrolled: 1-line block ×3, first 2 shown]
	v_add_f64 v[10:11], v[22:23], -v[102:103]
	v_add_f64 v[20:21], v[20:21], -v[104:105]
	v_add_f64 v[22:23], v[102:103], v[22:23]
	v_add_f64 v[94:95], v[80:81], -v[28:29]
	v_add_f64 v[96:97], v[82:83], -v[30:31]
	;; [unrolled: 1-line block ×6, first 2 shown]
	v_add_f64 v[28:29], v[45:46], v[36:37]
	v_add_f64 v[30:31], v[88:89], v[38:39]
	v_add_f64 v[102:103], v[45:46], -v[36:37]
	v_add_f64 v[104:105], v[88:89], -v[38:39]
	;; [unrolled: 1-line block ×4, first 2 shown]
	v_add_f64 v[84:85], v[84:85], v[90:91]
	v_add_f64 v[86:87], v[86:87], v[92:93]
	v_add_f64 v[45:46], v[32:33], -v[45:46]
	v_add_f64 v[88:89], v[34:35], -v[88:89]
	v_add_f64 v[32:33], v[28:29], v[32:33]
	v_add_f64 v[34:35], v[30:31], v[34:35]
	v_mul_f64 v[90:91], v[98:99], s[16:17]
	v_mul_f64 v[92:93], v[100:101], s[16:17]
	v_add_f64 v[28:29], v[136:137], v[84:85]
	v_add_f64 v[30:31], v[138:139], v[86:87]
	v_mul_f64 v[98:99], v[80:81], s[6:7]
	v_mul_f64 v[100:101], v[82:83], s[6:7]
	;; [unrolled: 1-line block ×6, first 2 shown]
	v_fma_f64 v[84:85], v[84:85], s[26:27], v[28:29]
	v_fma_f64 v[86:87], v[86:87], s[26:27], v[30:31]
	;; [unrolled: 1-line block ×4, first 2 shown]
	v_fma_f64 v[98:99], v[94:95], s[14:15], -v[98:99]
	v_fma_f64 v[100:101], v[96:97], s[14:15], -v[100:101]
	;; [unrolled: 1-line block ×4, first 2 shown]
	v_fma_f64 v[94:95], v[45:46], s[28:29], v[102:103]
	v_fma_f64 v[96:97], v[88:89], s[28:29], v[104:105]
	v_fma_f64 v[36:37], v[36:37], s[4:5], -v[102:103]
	v_fma_f64 v[38:39], v[38:39], s[4:5], -v[104:105]
	;; [unrolled: 1-line block ×4, first 2 shown]
	v_add_f64 v[102:103], v[80:81], v[84:85]
	v_add_f64 v[104:105], v[82:83], v[86:87]
	;; [unrolled: 1-line block ×6, first 2 shown]
	v_fma_f64 v[94:95], v[32:33], s[22:23], v[94:95]
	v_fma_f64 v[96:97], v[34:35], s[22:23], v[96:97]
	;; [unrolled: 1-line block ×6, first 2 shown]
	s_barrier
	v_add_f64 v[34:35], v[104:105], -v[94:95]
	v_add_f64 v[32:33], v[96:97], v[102:103]
	v_add_f64 v[82:83], v[86:87], v[100:101]
	v_add_f64 v[80:81], v[98:99], -v[84:85]
	v_add_f64 v[38:39], v[92:93], -v[45:46]
	v_add_f64 v[36:37], v[88:89], v[90:91]
	v_add_f64 v[84:85], v[84:85], v[98:99]
	v_add_f64 v[86:87], v[100:101], -v[86:87]
	v_add_f64 v[88:89], v[90:91], -v[88:89]
	v_add_f64 v[90:91], v[45:46], v[92:93]
	v_add_f64 v[92:93], v[102:103], -v[96:97]
	v_add_f64 v[94:95], v[94:95], v[104:105]
	ds_write_b128 v41, v[0:3]
	ds_write_b128 v41, v[4:7] offset:768
	ds_write_b128 v41, v[8:11] offset:1536
	;; [unrolled: 1-line block ×6, first 2 shown]
	ds_write_b128 v44, v[28:31]
	ds_write_b128 v44, v[32:35] offset:768
	ds_write_b128 v44, v[36:39] offset:1536
	;; [unrolled: 1-line block ×6, first 2 shown]
	s_and_saveexec_b64 s[30:31], s[2:3]
	s_cbranch_execz .LBB0_45
; %bb.44:
	v_mul_f64 v[0:1], v[58:59], v[174:175]
	v_mul_f64 v[2:3], v[62:63], v[170:171]
	v_mul_f64 v[8:9], v[74:75], v[192:193]
	v_mul_f64 v[10:11], v[70:71], v[128:129]
	v_mul_f64 v[12:13], v[78:79], v[188:189]
	v_mul_f64 v[14:15], v[66:67], v[164:165]
	v_mul_f64 v[16:17], v[66:67], v[166:167]
	v_mul_f64 v[18:19], v[78:79], v[190:191]
	v_mul_f64 v[4:5], v[70:71], v[130:131]
	v_mul_f64 v[6:7], v[74:75], v[194:195]
	v_fma_f64 v[0:1], v[56:57], v[172:173], v[0:1]
	v_fma_f64 v[2:3], v[60:61], v[168:169], v[2:3]
	v_fma_f64 v[8:9], v[72:73], v[194:195], -v[8:9]
	v_fma_f64 v[10:11], v[68:69], v[130:131], -v[10:11]
	v_mul_f64 v[20:21], v[62:63], v[168:169]
	v_mul_f64 v[22:23], v[58:59], v[172:173]
	v_fma_f64 v[12:13], v[76:77], v[190:191], -v[12:13]
	v_fma_f64 v[14:15], v[64:65], v[166:167], -v[14:15]
	v_fma_f64 v[16:17], v[64:65], v[164:165], v[16:17]
	v_fma_f64 v[18:19], v[76:77], v[188:189], v[18:19]
	;; [unrolled: 1-line block ×4, first 2 shown]
	v_fma_f64 v[20:21], v[60:61], v[170:171], -v[20:21]
	v_fma_f64 v[22:23], v[56:57], v[174:175], -v[22:23]
	v_add_f64 v[24:25], v[10:11], v[8:9]
	v_add_f64 v[26:27], v[14:15], v[12:13]
	v_add_f64 v[28:29], v[0:1], -v[2:3]
	v_add_f64 v[30:31], v[16:17], -v[18:19]
	v_add_f64 v[16:17], v[16:17], v[18:19]
	v_add_f64 v[36:37], v[4:5], -v[6:7]
	v_add_f64 v[4:5], v[4:5], v[6:7]
	v_add_f64 v[32:33], v[20:21], v[22:23]
	;; [unrolled: 1-line block ×4, first 2 shown]
	v_add_f64 v[20:21], v[22:23], -v[20:21]
	v_add_f64 v[38:39], v[28:29], -v[30:31]
	;; [unrolled: 1-line block ×4, first 2 shown]
	v_add_f64 v[44:45], v[16:17], v[4:5]
	v_add_f64 v[6:7], v[24:25], -v[32:33]
	v_add_f64 v[10:11], v[4:5], -v[46:47]
	v_add_f64 v[18:19], v[32:33], v[34:35]
	v_add_f64 v[34:35], v[36:37], -v[28:29]
	v_mul_f64 v[38:39], v[38:39], s[18:19]
	v_add_f64 v[28:29], v[28:29], v[30:31]
	v_add_f64 v[14:15], v[30:31], -v[36:37]
	v_add_f64 v[22:23], v[46:47], -v[16:17]
	v_mul_f64 v[56:57], v[6:7], s[16:17]
	v_add_f64 v[6:7], v[32:33], -v[26:27]
	v_add_f64 v[2:3], v[134:135], v[18:19]
	v_add_f64 v[32:33], v[46:47], v[44:45]
	v_fma_f64 v[44:45], v[34:35], s[28:29], v[38:39]
	v_add_f64 v[28:29], v[28:29], v[36:37]
	v_add_f64 v[60:61], v[12:13], -v[8:9]
	v_add_f64 v[24:25], v[26:27], -v[24:25]
	v_mul_f64 v[10:11], v[10:11], s[16:17]
	v_fma_f64 v[58:59], v[6:7], s[6:7], v[56:57]
	v_fma_f64 v[18:19], v[18:19], s[26:27], v[2:3]
	v_add_f64 v[0:1], v[132:133], v[32:33]
	v_mul_f64 v[26:27], v[6:7], s[6:7]
	v_fma_f64 v[30:31], v[28:29], s[22:23], v[44:45]
	v_add_f64 v[44:45], v[20:21], -v[12:13]
	v_mul_f64 v[46:47], v[14:15], s[4:5]
	v_add_f64 v[12:13], v[20:21], v[12:13]
	v_add_f64 v[4:5], v[16:17], -v[4:5]
	v_add_f64 v[36:37], v[58:59], v[18:19]
	v_add_f64 v[58:59], v[8:9], -v[20:21]
	v_mul_f64 v[20:21], v[22:23], s[6:7]
	v_mul_f64 v[16:17], v[60:61], s[4:5]
	;; [unrolled: 1-line block ×3, first 2 shown]
	v_fma_f64 v[32:33], v[32:33], s[26:27], v[0:1]
	v_fma_f64 v[22:23], v[22:23], s[6:7], v[10:11]
	v_fma_f64 v[34:35], v[34:35], s[24:25], -v[46:47]
	v_fma_f64 v[46:47], v[24:25], s[20:21], -v[56:57]
	v_add_f64 v[8:9], v[12:13], v[8:9]
	v_fma_f64 v[12:13], v[24:25], s[14:15], -v[26:27]
	v_fma_f64 v[14:15], v[14:15], s[4:5], -v[38:39]
	v_fma_f64 v[56:57], v[58:59], s[28:29], v[44:45]
	v_fma_f64 v[10:11], v[4:5], s[20:21], -v[10:11]
	v_fma_f64 v[16:17], v[58:59], s[24:25], -v[16:17]
	;; [unrolled: 1-line block ×4, first 2 shown]
	v_fma_f64 v[24:25], v[28:29], s[22:23], v[34:35]
	v_add_f64 v[26:27], v[46:47], v[18:19]
	v_add_f64 v[12:13], v[12:13], v[18:19]
	v_fma_f64 v[18:19], v[28:29], s[22:23], v[14:15]
	v_add_f64 v[28:29], v[22:23], v[32:33]
	v_fma_f64 v[34:35], v[8:9], s[22:23], v[56:57]
	v_fma_f64 v[44:45], v[8:9], s[22:23], v[16:17]
	v_add_f64 v[4:5], v[4:5], v[32:33]
	v_fma_f64 v[8:9], v[8:9], s[22:23], v[20:21]
	v_add_f64 v[38:39], v[10:11], v[32:33]
	v_add_f64 v[10:11], v[24:25], v[26:27]
	v_add_f64 v[14:15], v[12:13], -v[18:19]
	v_add_f64 v[18:19], v[18:19], v[12:13]
	v_add_f64 v[22:23], v[26:27], -v[24:25]
	;; [unrolled: 2-line block ×3, first 2 shown]
	v_add_f64 v[16:17], v[4:5], -v[8:9]
	v_add_f64 v[12:13], v[8:9], v[4:5]
	v_add_f64 v[4:5], v[28:29], -v[34:35]
	buffer_load_dword v28, off, s[40:43], 0 offset:336 ; 4-byte Folded Reload
	v_add_f64 v[20:21], v[44:45], v[38:39]
	v_add_f64 v[8:9], v[38:39], -v[44:45]
	v_add_f64 v[6:7], v[30:31], v[36:37]
	s_waitcnt vmcnt(0)
	ds_write_b128 v28, v[0:3] offset:21504
	ds_write_b128 v28, v[24:27] offset:22272
	;; [unrolled: 1-line block ×7, first 2 shown]
.LBB0_45:
	s_or_b64 exec, exec, s[30:31]
	buffer_load_dword v0, off, s[40:43], 0 offset:88 ; 4-byte Folded Reload
	buffer_load_dword v1, off, s[40:43], 0 offset:92 ; 4-byte Folded Reload
	s_waitcnt vmcnt(0) lgkmcnt(0)
	s_barrier
	ds_read_b128 v[2:5], v42
	ds_read_b128 v[6:9], v42 offset:1792
	ds_read_b128 v[10:13], v42 offset:10752
	ds_read_b128 v[14:17], v42 offset:12544
	ds_read_b128 v[18:21], v42 offset:21504
	ds_read_b128 v[22:25], v42 offset:23296
	ds_read_b128 v[26:29], v42 offset:5376
	ds_read_b128 v[30:33], v42 offset:3584
	ds_read_b128 v[34:37], v42 offset:7168
	ds_read_b128 v[44:47], v42 offset:8960
	ds_read_b128 v[56:59], v42 offset:16128
	ds_read_b128 v[60:63], v42 offset:14336
	s_waitcnt lgkmcnt(5)
	v_mul_f64 v[38:39], v[154:155], v[28:29]
	v_mul_f64 v[76:77], v[154:155], v[26:27]
	;; [unrolled: 1-line block ×4, first 2 shown]
	s_waitcnt lgkmcnt(1)
	v_mul_f64 v[82:83], v[158:159], v[58:59]
	v_mul_f64 v[84:85], v[158:159], v[56:57]
	ds_read_b128 v[64:67], v42 offset:17920
	ds_read_b128 v[68:71], v42 offset:19712
	;; [unrolled: 1-line block ×3, first 2 shown]
	v_mul_f64 v[86:87], v[150:151], v[18:19]
	v_fma_f64 v[26:27], v[152:153], v[26:27], v[38:39]
	v_mul_f64 v[38:39], v[150:151], v[20:21]
	v_fma_f64 v[28:29], v[152:153], v[28:29], -v[76:77]
	v_fma_f64 v[76:77], v[160:161], v[10:11], v[78:79]
	v_mul_f64 v[10:11], v[182:183], v[36:37]
	v_fma_f64 v[78:79], v[160:161], v[12:13], -v[80:81]
	v_fma_f64 v[12:13], v[156:157], v[56:57], v[82:83]
	v_fma_f64 v[56:57], v[156:157], v[58:59], -v[84:85]
	v_mul_f64 v[58:59], v[198:199], v[16:17]
	v_fma_f64 v[18:19], v[148:149], v[18:19], v[38:39]
	v_mul_f64 v[38:39], v[182:183], v[34:35]
	v_mul_f64 v[80:81], v[198:199], v[14:15]
	s_waitcnt lgkmcnt(2)
	v_mul_f64 v[84:85], v[186:187], v[64:65]
	v_fma_f64 v[34:35], v[180:181], v[34:35], v[10:11]
	v_mul_f64 v[10:11], v[178:179], v[24:25]
	v_fma_f64 v[20:21], v[148:149], v[20:21], -v[86:87]
	v_mul_f64 v[82:83], v[186:187], v[66:67]
	v_mul_f64 v[86:87], v[178:179], v[22:23]
	v_fma_f64 v[36:37], v[180:181], v[36:37], -v[38:39]
	v_fma_f64 v[38:39], v[196:197], v[14:15], v[58:59]
	v_fma_f64 v[58:59], v[196:197], v[16:17], -v[80:81]
	v_fma_f64 v[66:67], v[184:185], v[66:67], -v[84:85]
	v_mul_f64 v[14:15], v[210:211], v[46:47]
	v_fma_f64 v[80:81], v[176:177], v[22:23], v[10:11]
	v_mul_f64 v[10:11], v[210:211], v[44:45]
	v_mul_f64 v[16:17], v[214:215], v[62:63]
	v_add_f64 v[22:23], v[2:3], v[26:27]
	v_add_f64 v[84:85], v[76:77], v[12:13]
	v_fma_f64 v[64:65], v[184:185], v[64:65], v[82:83]
	v_fma_f64 v[82:83], v[176:177], v[24:25], -v[86:87]
	v_fma_f64 v[86:87], v[208:209], v[44:45], v[14:15]
	s_waitcnt lgkmcnt(1)
	v_mul_f64 v[14:15], v[206:207], v[70:71]
	v_mul_f64 v[44:45], v[206:207], v[68:69]
	v_fma_f64 v[88:89], v[208:209], v[46:47], -v[10:11]
	v_fma_f64 v[90:91], v[212:213], v[60:61], v[16:17]
	v_add_f64 v[10:11], v[22:23], v[76:77]
	v_fma_f64 v[16:17], v[84:85], -0.5, v[2:3]
	v_add_f64 v[22:23], v[28:29], -v[20:21]
	v_mul_f64 v[24:25], v[214:215], v[60:61]
	v_fma_f64 v[68:69], v[204:205], v[68:69], v[14:15]
	v_fma_f64 v[70:71], v[204:205], v[70:71], -v[44:45]
	s_waitcnt lgkmcnt(0)
	v_mul_f64 v[14:15], v[202:203], v[74:75]
	v_add_f64 v[46:47], v[78:79], -v[56:57]
	v_add_f64 v[60:61], v[26:27], v[18:19]
	s_mov_b32 s4, 0x4755a5e
	s_mov_b32 s5, 0xbfe2cf23
	v_fma_f64 v[62:63], v[212:213], v[62:63], -v[24:25]
	v_mul_f64 v[24:25], v[202:203], v[72:73]
	v_add_f64 v[84:85], v[26:27], -v[76:77]
	v_add_f64 v[92:93], v[18:19], -v[12:13]
	v_fma_f64 v[72:73], v[200:201], v[72:73], v[14:15]
	v_fma_f64 v[2:3], v[60:61], -0.5, v[2:3]
	s_mov_b32 s7, 0x3fee6f0e
	v_add_f64 v[10:11], v[10:11], v[12:13]
	v_add_f64 v[60:61], v[78:79], v[56:57]
	v_fma_f64 v[74:75], v[200:201], v[74:75], -v[24:25]
	v_add_f64 v[94:95], v[12:13], -v[18:19]
	v_add_f64 v[24:25], v[84:85], v[92:93]
	v_add_f64 v[92:93], v[76:77], -v[26:27]
	s_mov_b32 s15, 0x3fe2cf23
	s_mov_b32 s14, s4
	v_add_f64 v[10:11], v[10:11], v[18:19]
	v_fma_f64 v[60:61], v[60:61], -0.5, v[4:5]
	v_add_f64 v[26:27], v[26:27], -v[18:19]
	s_mov_b32 s16, 0x372fe950
	s_mov_b32 s17, 0x3fd3c6ef
	v_add_f64 v[76:77], v[76:77], -v[12:13]
	v_mov_b32_e32 v41, v0
	v_mad_u64_u32 v[0:1], s[2:3], s10, v41, 0
	s_mov_b32 s2, 0x134454ff
	s_mov_b32 s3, 0xbfee6f0e
	v_fma_f64 v[44:45], v[22:23], s[2:3], v[16:17]
	s_mov_b32 s6, s2
	v_fma_f64 v[16:17], v[22:23], s[6:7], v[16:17]
	v_fma_f64 v[84:85], v[46:47], s[6:7], v[2:3]
	;; [unrolled: 1-line block ×3, first 2 shown]
	v_add_f64 v[96:97], v[64:65], -v[80:81]
	v_fma_f64 v[14:15], v[46:47], s[4:5], v[44:45]
	v_add_f64 v[44:45], v[4:5], v[28:29]
	v_fma_f64 v[16:17], v[46:47], s[14:15], v[16:17]
	v_fma_f64 v[18:19], v[22:23], s[4:5], v[84:85]
	v_add_f64 v[46:47], v[92:93], v[94:95]
	v_fma_f64 v[22:23], v[22:23], s[14:15], v[2:3]
	v_add_f64 v[92:93], v[28:29], v[20:21]
	v_fma_f64 v[84:85], v[26:27], s[6:7], v[60:61]
	v_fma_f64 v[2:3], v[24:25], s[16:17], v[14:15]
	v_add_f64 v[44:45], v[44:45], v[78:79]
	v_fma_f64 v[14:15], v[24:25], s[16:17], v[16:17]
	v_add_f64 v[24:25], v[28:29], -v[78:79]
	v_fma_f64 v[18:19], v[46:47], s[16:17], v[18:19]
	v_fma_f64 v[22:23], v[46:47], s[16:17], v[22:23]
	v_fma_f64 v[4:5], v[92:93], -0.5, v[4:5]
	v_add_f64 v[46:47], v[6:7], v[34:35]
	v_fma_f64 v[16:17], v[76:77], s[14:15], v[84:85]
	v_add_f64 v[44:45], v[44:45], v[56:57]
	v_fma_f64 v[60:61], v[26:27], s[2:3], v[60:61]
	v_add_f64 v[84:85], v[38:39], v[64:65]
	v_add_f64 v[28:29], v[78:79], -v[28:29]
	v_add_f64 v[78:79], v[34:35], v[80:81]
	v_fma_f64 v[92:93], v[76:77], s[2:3], v[4:5]
	v_fma_f64 v[4:5], v[76:77], s[6:7], v[4:5]
	v_add_f64 v[94:95], v[38:39], -v[34:35]
	v_add_f64 v[12:13], v[44:45], v[20:21]
	v_add_f64 v[44:45], v[20:21], -v[56:57]
	v_add_f64 v[20:21], v[56:57], -v[20:21]
	v_fma_f64 v[56:57], v[84:85], -0.5, v[6:7]
	v_add_f64 v[84:85], v[58:59], -v[66:67]
	v_add_f64 v[24:25], v[24:25], v[44:45]
	v_add_f64 v[44:45], v[46:47], v[38:39]
	v_fma_f64 v[46:47], v[76:77], s[4:5], v[60:61]
	v_add_f64 v[60:61], v[36:37], -v[82:83]
	v_fma_f64 v[76:77], v[26:27], s[14:15], v[92:93]
	v_add_f64 v[28:29], v[28:29], v[20:21]
	v_fma_f64 v[26:27], v[26:27], s[4:5], v[4:5]
	v_fma_f64 v[4:5], v[24:25], s[16:17], v[16:17]
	v_add_f64 v[44:45], v[44:45], v[64:65]
	v_fma_f64 v[16:17], v[24:25], s[16:17], v[46:47]
	v_fma_f64 v[46:47], v[60:61], s[2:3], v[56:57]
	;; [unrolled: 1-line block ×5, first 2 shown]
	v_fma_f64 v[26:27], v[78:79], -0.5, v[6:7]
	v_add_f64 v[28:29], v[34:35], -v[38:39]
	v_add_f64 v[6:7], v[44:45], v[80:81]
	v_add_f64 v[44:45], v[80:81], -v[64:65]
	v_fma_f64 v[46:47], v[84:85], s[4:5], v[46:47]
	v_add_f64 v[76:77], v[8:9], v[36:37]
	v_add_f64 v[78:79], v[58:59], v[66:67]
	v_add_f64 v[80:81], v[34:35], -v[80:81]
	v_fma_f64 v[92:93], v[84:85], s[6:7], v[26:27]
	v_add_f64 v[38:39], v[38:39], -v[64:65]
	v_add_f64 v[64:65], v[90:91], v[68:69]
	v_add_f64 v[28:29], v[28:29], v[44:45]
	v_fma_f64 v[44:45], v[84:85], s[14:15], v[56:57]
	v_fma_f64 v[56:57], v[84:85], s[2:3], v[26:27]
	v_add_f64 v[76:77], v[76:77], v[58:59]
	v_fma_f64 v[78:79], v[78:79], -0.5, v[8:9]
	v_fma_f64 v[84:85], v[60:61], s[4:5], v[92:93]
	v_add_f64 v[92:93], v[94:95], v[96:97]
	v_add_f64 v[94:95], v[82:83], -v[66:67]
	v_fma_f64 v[26:27], v[28:29], s[16:17], v[46:47]
	v_fma_f64 v[34:35], v[28:29], s[16:17], v[44:45]
	;; [unrolled: 1-line block ×3, first 2 shown]
	v_add_f64 v[60:61], v[36:37], v[82:83]
	v_add_f64 v[46:47], v[76:77], v[66:67]
	v_fma_f64 v[76:77], v[80:81], s[6:7], v[78:79]
	v_fma_f64 v[44:45], v[92:93], s[16:17], v[84:85]
	v_add_f64 v[84:85], v[36:37], -v[58:59]
	v_fma_f64 v[78:79], v[80:81], s[2:3], v[78:79]
	v_fma_f64 v[64:65], v[64:65], -0.5, v[30:31]
	v_fma_f64 v[56:57], v[92:93], s[16:17], v[28:29]
	v_fma_f64 v[28:29], v[60:61], -0.5, v[8:9]
	v_add_f64 v[60:61], v[30:31], v[86:87]
	v_add_f64 v[8:9], v[46:47], v[82:83]
	v_fma_f64 v[46:47], v[38:39], s[14:15], v[76:77]
	v_add_f64 v[76:77], v[88:89], -v[74:75]
	v_add_f64 v[84:85], v[84:85], v[94:95]
	v_add_f64 v[36:37], v[58:59], -v[36:37]
	v_add_f64 v[58:59], v[66:67], -v[82:83]
	v_fma_f64 v[92:93], v[38:39], s[2:3], v[28:29]
	v_fma_f64 v[28:29], v[38:39], s[6:7], v[28:29]
	v_add_f64 v[60:61], v[60:61], v[90:91]
	v_fma_f64 v[38:39], v[38:39], s[4:5], v[78:79]
	v_fma_f64 v[66:67], v[76:77], s[2:3], v[64:65]
	v_add_f64 v[82:83], v[62:63], -v[70:71]
	v_add_f64 v[94:95], v[86:87], -v[90:91]
	;; [unrolled: 1-line block ×3, first 2 shown]
	v_add_f64 v[78:79], v[86:87], v[72:73]
	v_fma_f64 v[92:93], v[80:81], s[14:15], v[92:93]
	v_add_f64 v[58:59], v[36:37], v[58:59]
	v_fma_f64 v[80:81], v[80:81], s[4:5], v[28:29]
	;; [unrolled: 2-line block ×3, first 2 shown]
	v_fma_f64 v[36:37], v[84:85], s[16:17], v[38:39]
	v_add_f64 v[38:39], v[62:63], v[70:71]
	v_add_f64 v[84:85], v[88:89], v[74:75]
	v_fma_f64 v[66:67], v[82:83], s[4:5], v[66:67]
	v_add_f64 v[94:95], v[94:95], v[96:97]
	v_fma_f64 v[78:79], v[78:79], -0.5, v[30:31]
	v_fma_f64 v[46:47], v[58:59], s[16:17], v[92:93]
	v_fma_f64 v[58:59], v[58:59], s[16:17], v[80:81]
	v_add_f64 v[30:31], v[60:61], v[72:73]
	v_fma_f64 v[64:65], v[76:77], s[6:7], v[64:65]
	v_add_f64 v[80:81], v[90:91], -v[86:87]
	v_add_f64 v[92:93], v[68:69], -v[72:73]
	v_add_f64 v[96:97], v[32:33], v[88:89]
	v_fma_f64 v[38:39], v[38:39], -0.5, v[32:33]
	v_add_f64 v[72:73], v[86:87], -v[72:73]
	v_add_f64 v[68:69], v[90:91], -v[68:69]
	v_fma_f64 v[32:33], v[84:85], -0.5, v[32:33]
	v_fma_f64 v[60:61], v[94:95], s[16:17], v[66:67]
	v_fma_f64 v[66:67], v[82:83], s[6:7], v[78:79]
	;; [unrolled: 1-line block ×3, first 2 shown]
	v_add_f64 v[80:81], v[80:81], v[92:93]
	v_fma_f64 v[78:79], v[82:83], s[2:3], v[78:79]
	v_add_f64 v[82:83], v[96:97], v[62:63]
	v_fma_f64 v[84:85], v[72:73], s[6:7], v[38:39]
	v_add_f64 v[86:87], v[88:89], -v[62:63]
	v_add_f64 v[90:91], v[74:75], -v[70:71]
	v_fma_f64 v[38:39], v[72:73], s[2:3], v[38:39]
	v_fma_f64 v[92:93], v[68:69], s[2:3], v[32:33]
	v_add_f64 v[62:63], v[62:63], -v[88:89]
	v_add_f64 v[88:89], v[70:71], -v[74:75]
	v_fma_f64 v[32:33], v[68:69], s[6:7], v[32:33]
	v_fma_f64 v[66:67], v[76:77], s[4:5], v[66:67]
	;; [unrolled: 1-line block ×3, first 2 shown]
	v_add_f64 v[70:71], v[82:83], v[70:71]
	v_fma_f64 v[78:79], v[68:69], s[14:15], v[84:85]
	v_add_f64 v[82:83], v[86:87], v[90:91]
	v_fma_f64 v[38:39], v[68:69], s[4:5], v[38:39]
	v_fma_f64 v[84:85], v[72:73], s[14:15], v[92:93]
	v_add_f64 v[86:87], v[62:63], v[88:89]
	v_fma_f64 v[88:89], v[72:73], s[4:5], v[32:33]
	v_fma_f64 v[64:65], v[94:95], s[16:17], v[64:65]
	;; [unrolled: 1-line block ×4, first 2 shown]
	v_add_f64 v[32:33], v[70:71], v[74:75]
	v_fma_f64 v[62:63], v[82:83], s[16:17], v[78:79]
	v_fma_f64 v[66:67], v[82:83], s[16:17], v[38:39]
	;; [unrolled: 1-line block ×4, first 2 shown]
	ds_write_b128 v42, v[10:13]
	ds_write_b128 v42, v[2:5] offset:5376
	ds_write_b128 v42, v[18:21] offset:10752
	;; [unrolled: 1-line block ×14, first 2 shown]
	s_waitcnt lgkmcnt(0)
	s_barrier
	ds_read_b128 v[2:5], v42
	ds_read_b128 v[6:9], v42 offset:1792
	v_mad_u64_u32 v[18:19], s[2:3], s8, v43, 0
	v_mov_b32_e32 v24, s13
	s_waitcnt lgkmcnt(1)
	v_mul_f64 v[10:11], v[54:55], v[4:5]
	v_mad_u64_u32 v[12:13], s[2:3], s11, v41, v[1:2]
	v_mul_f64 v[13:14], v[54:55], v[2:3]
	s_mov_b32 s2, 0x13813814
	v_mov_b32_e32 v1, v12
	s_mov_b32 s3, 0x3f438138
	v_lshlrev_b64 v[0:1], 4, v[0:1]
	v_fma_f64 v[10:11], v[52:53], v[2:3], v[10:11]
	v_mov_b32_e32 v2, v19
	v_add_co_u32_e32 v25, vcc, s12, v0
	v_fma_f64 v[12:13], v[52:53], v[4:5], -v[13:14]
	v_mad_u64_u32 v[14:15], s[4:5], s9, v43, v[2:3]
	ds_read_b128 v[2:5], v42 offset:13440
	v_mul_f64 v[10:11], v[10:11], s[2:3]
	v_mov_b32_e32 v19, v14
	ds_read_b128 v[14:17], v42 offset:10752
	buffer_load_dword v26, off, s[40:43], 0 offset:56 ; 4-byte Folded Reload
	buffer_load_dword v27, off, s[40:43], 0 offset:60 ; 4-byte Folded Reload
	;; [unrolled: 1-line block ×4, first 2 shown]
	v_mul_f64 v[12:13], v[12:13], s[2:3]
	v_addc_co_u32_e32 v24, vcc, v24, v1, vcc
	s_mul_i32 s4, s9, 0x348
	s_mul_hi_u32 s5, s8, 0x348
	s_add_i32 s5, s5, s4
	s_mul_i32 s4, s8, 0x348
	s_lshl_b64 s[4:5], s[4:5], 4
	v_mov_b32_e32 v30, s5
	s_mul_hi_u32 s7, s8, 0xfffffd28
	s_mul_i32 s6, s9, 0xfffffd28
	s_sub_i32 s7, s7, s8
	s_add_i32 s7, s7, s6
	s_mul_i32 s6, s8, 0xfffffd28
	s_lshl_b64 s[6:7], s[6:7], 4
	v_mov_b32_e32 v31, s7
	s_waitcnt vmcnt(0) lgkmcnt(1)
	v_mul_f64 v[20:21], v[28:29], v[4:5]
	v_mul_f64 v[22:23], v[28:29], v[2:3]
	v_fma_f64 v[0:1], v[26:27], v[2:3], v[20:21]
	v_lshlrev_b64 v[2:3], 4, v[18:19]
	v_fma_f64 v[4:5], v[26:27], v[4:5], -v[22:23]
	v_add_co_u32_e32 v18, vcc, v25, v2
	v_addc_co_u32_e32 v19, vcc, v24, v3, vcc
	global_store_dwordx4 v[18:19], v[10:13], off
	buffer_load_dword v20, off, s[40:43], 0 offset:8 ; 4-byte Folded Reload
	buffer_load_dword v21, off, s[40:43], 0 offset:12 ; 4-byte Folded Reload
	;; [unrolled: 1-line block ×4, first 2 shown]
	v_mul_f64 v[0:1], v[0:1], s[2:3]
	v_mul_f64 v[2:3], v[4:5], s[2:3]
	v_add_co_u32_e32 v12, vcc, s4, v18
	v_addc_co_u32_e32 v13, vcc, v19, v30, vcc
	global_store_dwordx4 v[12:13], v[0:3], off
	v_add_co_u32_e32 v12, vcc, s6, v12
	v_addc_co_u32_e32 v13, vcc, v13, v31, vcc
	s_waitcnt vmcnt(1)
	v_mul_f64 v[10:11], v[22:23], v[8:9]
	v_mul_f64 v[4:5], v[22:23], v[6:7]
	v_fma_f64 v[6:7], v[20:21], v[6:7], v[10:11]
	v_fma_f64 v[8:9], v[20:21], v[8:9], -v[4:5]
	v_mul_f64 v[0:1], v[6:7], s[2:3]
	ds_read_b128 v[4:7], v42 offset:15232
	v_mul_f64 v[2:3], v[8:9], s[2:3]
	ds_read_b128 v[8:11], v42 offset:17024
	buffer_load_dword v26, off, s[40:43], 0 offset:24 ; 4-byte Folded Reload
	buffer_load_dword v27, off, s[40:43], 0 offset:28 ; 4-byte Folded Reload
	;; [unrolled: 1-line block ×4, first 2 shown]
	ds_read_b128 v[18:21], v42 offset:3584
	s_waitcnt vmcnt(0) lgkmcnt(2)
	v_mul_f64 v[22:23], v[28:29], v[6:7]
	v_mul_f64 v[24:25], v[28:29], v[4:5]
	v_fma_f64 v[22:23], v[26:27], v[4:5], v[22:23]
	v_fma_f64 v[24:25], v[26:27], v[6:7], -v[24:25]
	ds_read_b128 v[4:7], v42 offset:5376
	buffer_load_dword v32, off, s[40:43], 0 offset:40 ; 4-byte Folded Reload
	buffer_load_dword v33, off, s[40:43], 0 offset:44 ; 4-byte Folded Reload
	;; [unrolled: 1-line block ×4, first 2 shown]
	s_waitcnt vmcnt(0) lgkmcnt(1)
	v_mul_f64 v[26:27], v[34:35], v[20:21]
	v_mul_f64 v[28:29], v[34:35], v[18:19]
	global_store_dwordx4 v[12:13], v[0:3], off
	v_add_co_u32_e32 v12, vcc, s4, v12
	v_mul_f64 v[0:1], v[22:23], s[2:3]
	v_mul_f64 v[2:3], v[24:25], s[2:3]
	v_addc_co_u32_e32 v13, vcc, v13, v30, vcc
	v_fma_f64 v[18:19], v[32:33], v[18:19], v[26:27]
	v_fma_f64 v[20:21], v[32:33], v[20:21], -v[28:29]
	buffer_load_dword v26, off, s[40:43], 0 offset:112 ; 4-byte Folded Reload
	buffer_load_dword v27, off, s[40:43], 0 offset:116 ; 4-byte Folded Reload
	;; [unrolled: 1-line block ×4, first 2 shown]
	s_waitcnt vmcnt(0)
	v_mul_f64 v[22:23], v[28:29], v[10:11]
	v_mul_f64 v[24:25], v[28:29], v[8:9]
	global_store_dwordx4 v[12:13], v[0:3], off
	v_add_co_u32_e32 v12, vcc, s6, v12
	v_mul_f64 v[0:1], v[18:19], s[2:3]
	v_mul_f64 v[2:3], v[20:21], s[2:3]
	v_addc_co_u32_e32 v13, vcc, v13, v31, vcc
	v_fma_f64 v[8:9], v[26:27], v[8:9], v[22:23]
	v_fma_f64 v[18:19], v[26:27], v[10:11], -v[24:25]
	buffer_load_dword v24, off, s[40:43], 0 offset:128 ; 4-byte Folded Reload
	buffer_load_dword v25, off, s[40:43], 0 offset:132 ; 4-byte Folded Reload
	;; [unrolled: 1-line block ×4, first 2 shown]
	s_waitcnt vmcnt(0) lgkmcnt(0)
	v_mul_f64 v[20:21], v[26:27], v[6:7]
	v_mul_f64 v[22:23], v[26:27], v[4:5]
	global_store_dwordx4 v[12:13], v[0:3], off
	v_add_co_u32_e32 v12, vcc, s4, v12
	v_mul_f64 v[0:1], v[8:9], s[2:3]
	ds_read_b128 v[8:11], v42 offset:18816
	v_mul_f64 v[2:3], v[18:19], s[2:3]
	v_fma_f64 v[18:19], v[24:25], v[4:5], v[20:21]
	v_fma_f64 v[22:23], v[24:25], v[6:7], -v[22:23]
	ds_read_b128 v[4:7], v42 offset:20608
	buffer_load_dword v32, off, s[40:43], 0 offset:72 ; 4-byte Folded Reload
	buffer_load_dword v33, off, s[40:43], 0 offset:76 ; 4-byte Folded Reload
	;; [unrolled: 1-line block ×4, first 2 shown]
	v_addc_co_u32_e32 v13, vcc, v13, v30, vcc
	global_store_dwordx4 v[12:13], v[0:3], off
	s_nop 0
	v_mul_f64 v[0:1], v[18:19], s[2:3]
	ds_read_b128 v[18:21], v42 offset:7168
	v_mul_f64 v[2:3], v[22:23], s[2:3]
	v_add_co_u32_e32 v12, vcc, s6, v12
	v_addc_co_u32_e32 v13, vcc, v13, v31, vcc
	s_waitcnt vmcnt(1) lgkmcnt(2)
	v_mul_f64 v[24:25], v[34:35], v[10:11]
	v_mul_f64 v[26:27], v[34:35], v[8:9]
	v_fma_f64 v[22:23], v[32:33], v[8:9], v[24:25]
	v_fma_f64 v[24:25], v[32:33], v[10:11], -v[26:27]
	ds_read_b128 v[8:11], v42 offset:8960
	buffer_load_dword v32, off, s[40:43], 0 offset:96 ; 4-byte Folded Reload
	buffer_load_dword v33, off, s[40:43], 0 offset:100 ; 4-byte Folded Reload
	;; [unrolled: 1-line block ×4, first 2 shown]
	s_waitcnt vmcnt(0) lgkmcnt(1)
	v_mul_f64 v[26:27], v[34:35], v[20:21]
	v_mul_f64 v[28:29], v[34:35], v[18:19]
	global_store_dwordx4 v[12:13], v[0:3], off
	v_add_co_u32_e32 v12, vcc, s4, v12
	v_mul_f64 v[0:1], v[22:23], s[2:3]
	v_mul_f64 v[2:3], v[24:25], s[2:3]
	v_addc_co_u32_e32 v13, vcc, v13, v30, vcc
	v_fma_f64 v[18:19], v[32:33], v[18:19], v[26:27]
	v_fma_f64 v[20:21], v[32:33], v[20:21], -v[28:29]
	buffer_load_dword v26, off, s[40:43], 0 offset:144 ; 4-byte Folded Reload
	buffer_load_dword v27, off, s[40:43], 0 offset:148 ; 4-byte Folded Reload
	;; [unrolled: 1-line block ×4, first 2 shown]
	s_waitcnt vmcnt(0)
	v_mul_f64 v[22:23], v[28:29], v[6:7]
	v_mul_f64 v[24:25], v[28:29], v[4:5]
	global_store_dwordx4 v[12:13], v[0:3], off
	v_add_co_u32_e32 v12, vcc, s6, v12
	v_mul_f64 v[0:1], v[18:19], s[2:3]
	v_mul_f64 v[2:3], v[20:21], s[2:3]
	s_waitcnt lgkmcnt(0)
	v_mul_f64 v[20:21], v[50:51], v[10:11]
	v_fma_f64 v[4:5], v[26:27], v[4:5], v[22:23]
	v_fma_f64 v[18:19], v[26:27], v[6:7], -v[24:25]
	v_mul_f64 v[22:23], v[50:51], v[8:9]
	v_addc_co_u32_e32 v13, vcc, v13, v31, vcc
	global_store_dwordx4 v[12:13], v[0:3], off
	v_add_co_u32_e32 v12, vcc, s4, v12
	v_mul_f64 v[0:1], v[4:5], s[2:3]
	ds_read_b128 v[4:7], v42 offset:22400
	v_mul_f64 v[2:3], v[18:19], s[2:3]
	v_fma_f64 v[18:19], v[48:49], v[8:9], v[20:21]
	v_fma_f64 v[20:21], v[48:49], v[10:11], -v[22:23]
	ds_read_b128 v[8:11], v42 offset:24192
	buffer_load_dword v26, off, s[40:43], 0 offset:160 ; 4-byte Folded Reload
	buffer_load_dword v27, off, s[40:43], 0 offset:164 ; 4-byte Folded Reload
	;; [unrolled: 1-line block ×4, first 2 shown]
	v_addc_co_u32_e32 v13, vcc, v13, v30, vcc
	global_store_dwordx4 v[12:13], v[0:3], off
	s_nop 0
	v_mul_f64 v[0:1], v[18:19], s[2:3]
	v_mul_f64 v[2:3], v[20:21], s[2:3]
	v_add_co_u32_e32 v12, vcc, s6, v12
	v_addc_co_u32_e32 v13, vcc, v13, v31, vcc
	s_waitcnt vmcnt(1) lgkmcnt(1)
	v_mul_f64 v[22:23], v[28:29], v[6:7]
	v_mul_f64 v[24:25], v[28:29], v[4:5]
	v_fma_f64 v[4:5], v[26:27], v[4:5], v[22:23]
	v_fma_f64 v[6:7], v[26:27], v[6:7], -v[24:25]
	buffer_load_dword v26, off, s[40:43], 0 offset:176 ; 4-byte Folded Reload
	buffer_load_dword v27, off, s[40:43], 0 offset:180 ; 4-byte Folded Reload
	;; [unrolled: 1-line block ×8, first 2 shown]
	s_waitcnt vmcnt(4)
	v_mul_f64 v[18:19], v[28:29], v[16:17]
	v_mul_f64 v[20:21], v[28:29], v[14:15]
	s_waitcnt vmcnt(0) lgkmcnt(0)
	v_mul_f64 v[22:23], v[34:35], v[10:11]
	v_mul_f64 v[24:25], v[34:35], v[8:9]
	global_store_dwordx4 v[12:13], v[0:3], off
	v_add_co_u32_e32 v12, vcc, s4, v12
	v_mul_f64 v[0:1], v[4:5], s[2:3]
	v_mul_f64 v[2:3], v[6:7], s[2:3]
	v_fma_f64 v[4:5], v[26:27], v[14:15], v[18:19]
	v_fma_f64 v[6:7], v[26:27], v[16:17], -v[20:21]
	v_fma_f64 v[8:9], v[32:33], v[8:9], v[22:23]
	v_fma_f64 v[10:11], v[32:33], v[10:11], -v[24:25]
	v_addc_co_u32_e32 v13, vcc, v13, v30, vcc
	global_store_dwordx4 v[12:13], v[0:3], off
	v_mul_f64 v[4:5], v[4:5], s[2:3]
	v_mul_f64 v[6:7], v[6:7], s[2:3]
	;; [unrolled: 1-line block ×4, first 2 shown]
	v_add_co_u32_e32 v0, vcc, s6, v12
	v_addc_co_u32_e32 v1, vcc, v13, v31, vcc
	global_store_dwordx4 v[0:1], v[4:7], off
	v_add_co_u32_e32 v0, vcc, s4, v0
	v_addc_co_u32_e32 v1, vcc, v1, v30, vcc
	global_store_dwordx4 v[0:1], v[8:11], off
	s_and_b64 exec, exec, s[0:1]
	s_cbranch_execz .LBB0_47
; %bb.46:
	buffer_load_dword v16, off, s[40:43], 0 offset:4 ; 4-byte Folded Reload
	v_add_co_u32_e32 v2, vcc, 0x3000, v40
	s_movk_i32 s0, 0x6000
	s_waitcnt vmcnt(0)
	v_addc_co_u32_e32 v3, vcc, 0, v16, vcc
	global_load_dwordx4 v[2:5], v[2:3], off offset:256
	ds_read_b128 v[6:9], v42 offset:12544
	ds_read_b128 v[10:13], v42 offset:25984
	s_waitcnt vmcnt(0) lgkmcnt(1)
	v_mul_f64 v[14:15], v[8:9], v[4:5]
	v_mul_f64 v[4:5], v[6:7], v[4:5]
	v_fma_f64 v[6:7], v[6:7], v[2:3], v[14:15]
	v_fma_f64 v[4:5], v[2:3], v[8:9], -v[4:5]
	v_mov_b32_e32 v8, s7
	v_mul_f64 v[2:3], v[6:7], s[2:3]
	v_mul_f64 v[4:5], v[4:5], s[2:3]
	v_add_co_u32_e32 v6, vcc, s6, v0
	v_addc_co_u32_e32 v7, vcc, v1, v8, vcc
	v_add_co_u32_e32 v0, vcc, s0, v40
	v_addc_co_u32_e32 v1, vcc, 0, v16, vcc
	global_store_dwordx4 v[6:7], v[2:5], off
	global_load_dwordx4 v[0:3], v[0:1], off offset:1408
	s_waitcnt vmcnt(0) lgkmcnt(0)
	v_mul_f64 v[4:5], v[12:13], v[2:3]
	v_mul_f64 v[2:3], v[10:11], v[2:3]
	v_fma_f64 v[4:5], v[10:11], v[0:1], v[4:5]
	v_fma_f64 v[2:3], v[0:1], v[12:13], -v[2:3]
	v_mul_f64 v[0:1], v[4:5], s[2:3]
	v_mul_f64 v[2:3], v[2:3], s[2:3]
	v_mov_b32_e32 v5, s5
	v_add_co_u32_e32 v4, vcc, s4, v6
	v_addc_co_u32_e32 v5, vcc, v7, v5, vcc
	global_store_dwordx4 v[4:5], v[0:3], off
.LBB0_47:
	s_endpgm
	.section	.rodata,"a",@progbits
	.p2align	6, 0x0
	.amdhsa_kernel bluestein_single_back_len1680_dim1_dp_op_CI_CI
		.amdhsa_group_segment_fixed_size 26880
		.amdhsa_private_segment_fixed_size 348
		.amdhsa_kernarg_size 104
		.amdhsa_user_sgpr_count 6
		.amdhsa_user_sgpr_private_segment_buffer 1
		.amdhsa_user_sgpr_dispatch_ptr 0
		.amdhsa_user_sgpr_queue_ptr 0
		.amdhsa_user_sgpr_kernarg_segment_ptr 1
		.amdhsa_user_sgpr_dispatch_id 0
		.amdhsa_user_sgpr_flat_scratch_init 0
		.amdhsa_user_sgpr_private_segment_size 0
		.amdhsa_uses_dynamic_stack 0
		.amdhsa_system_sgpr_private_segment_wavefront_offset 1
		.amdhsa_system_sgpr_workgroup_id_x 1
		.amdhsa_system_sgpr_workgroup_id_y 0
		.amdhsa_system_sgpr_workgroup_id_z 0
		.amdhsa_system_sgpr_workgroup_info 0
		.amdhsa_system_vgpr_workitem_id 0
		.amdhsa_next_free_vgpr 256
		.amdhsa_next_free_sgpr 44
		.amdhsa_reserve_vcc 1
		.amdhsa_reserve_flat_scratch 0
		.amdhsa_float_round_mode_32 0
		.amdhsa_float_round_mode_16_64 0
		.amdhsa_float_denorm_mode_32 3
		.amdhsa_float_denorm_mode_16_64 3
		.amdhsa_dx10_clamp 1
		.amdhsa_ieee_mode 1
		.amdhsa_fp16_overflow 0
		.amdhsa_exception_fp_ieee_invalid_op 0
		.amdhsa_exception_fp_denorm_src 0
		.amdhsa_exception_fp_ieee_div_zero 0
		.amdhsa_exception_fp_ieee_overflow 0
		.amdhsa_exception_fp_ieee_underflow 0
		.amdhsa_exception_fp_ieee_inexact 0
		.amdhsa_exception_int_div_zero 0
	.end_amdhsa_kernel
	.text
.Lfunc_end0:
	.size	bluestein_single_back_len1680_dim1_dp_op_CI_CI, .Lfunc_end0-bluestein_single_back_len1680_dim1_dp_op_CI_CI
                                        ; -- End function
	.section	.AMDGPU.csdata,"",@progbits
; Kernel info:
; codeLenInByte = 25552
; NumSgprs: 48
; NumVgprs: 256
; ScratchSize: 348
; MemoryBound: 0
; FloatMode: 240
; IeeeMode: 1
; LDSByteSize: 26880 bytes/workgroup (compile time only)
; SGPRBlocks: 5
; VGPRBlocks: 63
; NumSGPRsForWavesPerEU: 48
; NumVGPRsForWavesPerEU: 256
; Occupancy: 1
; WaveLimiterHint : 1
; COMPUTE_PGM_RSRC2:SCRATCH_EN: 1
; COMPUTE_PGM_RSRC2:USER_SGPR: 6
; COMPUTE_PGM_RSRC2:TRAP_HANDLER: 0
; COMPUTE_PGM_RSRC2:TGID_X_EN: 1
; COMPUTE_PGM_RSRC2:TGID_Y_EN: 0
; COMPUTE_PGM_RSRC2:TGID_Z_EN: 0
; COMPUTE_PGM_RSRC2:TIDIG_COMP_CNT: 0
	.type	__hip_cuid_9cb01355f20e84a0,@object ; @__hip_cuid_9cb01355f20e84a0
	.section	.bss,"aw",@nobits
	.globl	__hip_cuid_9cb01355f20e84a0
__hip_cuid_9cb01355f20e84a0:
	.byte	0                               ; 0x0
	.size	__hip_cuid_9cb01355f20e84a0, 1

	.ident	"AMD clang version 19.0.0git (https://github.com/RadeonOpenCompute/llvm-project roc-6.4.0 25133 c7fe45cf4b819c5991fe208aaa96edf142730f1d)"
	.section	".note.GNU-stack","",@progbits
	.addrsig
	.addrsig_sym __hip_cuid_9cb01355f20e84a0
	.amdgpu_metadata
---
amdhsa.kernels:
  - .args:
      - .actual_access:  read_only
        .address_space:  global
        .offset:         0
        .size:           8
        .value_kind:     global_buffer
      - .actual_access:  read_only
        .address_space:  global
        .offset:         8
        .size:           8
        .value_kind:     global_buffer
      - .actual_access:  read_only
        .address_space:  global
        .offset:         16
        .size:           8
        .value_kind:     global_buffer
      - .actual_access:  read_only
        .address_space:  global
        .offset:         24
        .size:           8
        .value_kind:     global_buffer
      - .actual_access:  read_only
        .address_space:  global
        .offset:         32
        .size:           8
        .value_kind:     global_buffer
      - .offset:         40
        .size:           8
        .value_kind:     by_value
      - .address_space:  global
        .offset:         48
        .size:           8
        .value_kind:     global_buffer
      - .address_space:  global
        .offset:         56
        .size:           8
        .value_kind:     global_buffer
      - .address_space:  global
        .offset:         64
        .size:           8
        .value_kind:     global_buffer
      - .address_space:  global
        .offset:         72
        .size:           8
        .value_kind:     global_buffer
      - .offset:         80
        .size:           4
        .value_kind:     by_value
      - .address_space:  global
        .offset:         88
        .size:           8
        .value_kind:     global_buffer
      - .address_space:  global
        .offset:         96
        .size:           8
        .value_kind:     global_buffer
    .group_segment_fixed_size: 26880
    .kernarg_segment_align: 8
    .kernarg_segment_size: 104
    .language:       OpenCL C
    .language_version:
      - 2
      - 0
    .max_flat_workgroup_size: 112
    .name:           bluestein_single_back_len1680_dim1_dp_op_CI_CI
    .private_segment_fixed_size: 348
    .sgpr_count:     48
    .sgpr_spill_count: 0
    .symbol:         bluestein_single_back_len1680_dim1_dp_op_CI_CI.kd
    .uniform_work_group_size: 1
    .uses_dynamic_stack: false
    .vgpr_count:     256
    .vgpr_spill_count: 86
    .wavefront_size: 64
amdhsa.target:   amdgcn-amd-amdhsa--gfx906
amdhsa.version:
  - 1
  - 2
...

	.end_amdgpu_metadata
